;; amdgpu-corpus repo=ROCm/rocFFT kind=compiled arch=gfx1030 opt=O3
	.text
	.amdgcn_target "amdgcn-amd-amdhsa--gfx1030"
	.amdhsa_code_object_version 6
	.protected	bluestein_single_back_len935_dim1_sp_op_CI_CI ; -- Begin function bluestein_single_back_len935_dim1_sp_op_CI_CI
	.globl	bluestein_single_back_len935_dim1_sp_op_CI_CI
	.p2align	8
	.type	bluestein_single_back_len935_dim1_sp_op_CI_CI,@function
bluestein_single_back_len935_dim1_sp_op_CI_CI: ; @bluestein_single_back_len935_dim1_sp_op_CI_CI
; %bb.0:
	s_load_dwordx4 s[0:3], s[4:5], 0x28
	v_mul_u32_u24_e32 v1, 0x304, v0
	v_lshrrev_b32_e32 v1, 16, v1
	v_mad_u64_u32 v[84:85], null, s6, 3, v[1:2]
	v_mov_b32_e32 v85, 0
	s_waitcnt lgkmcnt(0)
	v_cmp_gt_u64_e32 vcc_lo, s[0:1], v[84:85]
	s_and_saveexec_b32 s0, vcc_lo
	s_cbranch_execz .LBB0_23
; %bb.1:
	v_mul_hi_u32 v2, 0xaaaaaaab, v84
	s_clause 0x1
	s_load_dwordx2 s[12:13], s[4:5], 0x0
	s_load_dwordx2 s[14:15], s[4:5], 0x38
	v_mul_lo_u16 v1, 0x55, v1
	v_sub_nc_u16 v0, v0, v1
	v_lshrrev_b32_e32 v2, 1, v2
	v_and_b32_e32 v88, 0xffff, v0
	v_lshl_add_u32 v2, v2, 1, v2
	v_cmp_gt_u16_e32 vcc_lo, 55, v0
	v_lshlrev_b32_e32 v87, 3, v88
	v_sub_nc_u32_e32 v1, v84, v2
	v_mul_u32_u24_e32 v89, 0x3a7, v1
	v_lshlrev_b32_e32 v90, 3, v89
	s_and_saveexec_b32 s1, vcc_lo
	s_cbranch_execz .LBB0_3
; %bb.2:
	s_load_dwordx2 s[6:7], s[4:5], 0x18
	s_waitcnt lgkmcnt(0)
	v_add_co_u32 v21, s0, s12, v87
	v_add_co_ci_u32_e64 v22, null, s13, 0, s0
	v_add_nc_u32_e32 v70, v90, v87
	v_add_co_u32 v14, s0, 0x800, v21
	v_add_co_ci_u32_e64 v15, s0, 0, v22, s0
	v_lshl_add_u32 v71, v88, 3, v90
	v_add_nc_u32_e32 v72, 0x800, v70
	v_add_nc_u32_e32 v73, 0xc00, v70
	;; [unrolled: 1-line block ×4, first 2 shown]
	s_load_dwordx4 s[8:11], s[6:7], 0x0
	s_clause 0x4
	global_load_dwordx2 v[4:5], v87, s[12:13]
	global_load_dwordx2 v[6:7], v87, s[12:13] offset:440
	global_load_dwordx2 v[8:9], v87, s[12:13] offset:880
	;; [unrolled: 1-line block ×4, first 2 shown]
	s_waitcnt lgkmcnt(0)
	v_mad_u64_u32 v[0:1], null, s10, v84, 0
	v_mad_u64_u32 v[2:3], null, s8, v88, 0
	s_mul_i32 s6, s9, 0x1b8
	s_mul_hi_u32 s7, s8, 0x1b8
	s_add_i32 s7, s7, s6
	v_mad_u64_u32 v[16:17], null, s11, v84, v[1:2]
	v_add_co_u32 v17, s0, 0x1000, v21
	v_add_co_ci_u32_e64 v18, s0, 0, v22, s0
	v_mov_b32_e32 v1, v16
	v_lshlrev_b64 v[0:1], 3, v[0:1]
	s_waitcnt vmcnt(4)
	v_mad_u64_u32 v[19:20], null, s9, v88, v[3:4]
	v_add_co_u32 v20, s0, 0x1800, v21
	v_add_co_ci_u32_e64 v21, s0, 0, v22, s0
	v_add_co_u32 v0, s0, s2, v0
	v_mov_b32_e32 v3, v19
	v_add_co_ci_u32_e64 v1, s0, s3, v1, s0
	s_mul_i32 s2, s8, 0x1b8
	s_clause 0x3
	global_load_dwordx2 v[22:23], v[14:15], off offset:152
	global_load_dwordx2 v[24:25], v[14:15], off offset:592
	global_load_dwordx2 v[26:27], v[14:15], off offset:1032
	global_load_dwordx2 v[28:29], v[14:15], off offset:1472
	v_lshlrev_b64 v[2:3], 3, v[2:3]
	s_clause 0x5
	global_load_dwordx2 v[14:15], v[14:15], off offset:1912
	global_load_dwordx2 v[30:31], v[17:18], off offset:304
	;; [unrolled: 1-line block ×6, first 2 shown]
	v_add_co_u32 v0, s0, v0, v2
	v_add_co_ci_u32_e64 v1, s0, v1, v3, s0
	v_add_co_u32 v2, s0, v0, s2
	v_add_co_ci_u32_e64 v3, s0, s7, v1, s0
	global_load_dwordx2 v[0:1], v[0:1], off
	v_add_co_u32 v18, s0, v2, s2
	v_add_co_ci_u32_e64 v19, s0, s7, v3, s0
	v_add_co_u32 v38, s0, v18, s2
	v_add_co_ci_u32_e64 v39, s0, s7, v19, s0
	;; [unrolled: 2-line block ×3, first 2 shown]
	s_clause 0x2
	global_load_dwordx2 v[2:3], v[2:3], off
	global_load_dwordx2 v[18:19], v[18:19], off
	;; [unrolled: 1-line block ×3, first 2 shown]
	v_add_co_u32 v42, s0, v40, s2
	v_add_co_ci_u32_e64 v43, s0, s7, v41, s0
	global_load_dwordx2 v[40:41], v[40:41], off
	v_add_co_u32 v44, s0, v42, s2
	v_add_co_ci_u32_e64 v45, s0, s7, v43, s0
	global_load_dwordx2 v[42:43], v[42:43], off
	v_add_co_u32 v46, s0, v44, s2
	v_add_co_ci_u32_e64 v47, s0, s7, v45, s0
	global_load_dwordx2 v[44:45], v[44:45], off
	v_add_co_u32 v48, s0, v46, s2
	v_add_co_ci_u32_e64 v49, s0, s7, v47, s0
	global_load_dwordx2 v[46:47], v[46:47], off
	v_add_co_u32 v50, s0, v48, s2
	v_add_co_ci_u32_e64 v51, s0, s7, v49, s0
	global_load_dwordx2 v[48:49], v[48:49], off
	v_add_co_u32 v52, s0, v50, s2
	v_add_co_ci_u32_e64 v53, s0, s7, v51, s0
	global_load_dwordx2 v[50:51], v[50:51], off
	v_add_co_u32 v54, s0, v52, s2
	v_add_co_ci_u32_e64 v55, s0, s7, v53, s0
	global_load_dwordx2 v[52:53], v[52:53], off
	v_add_co_u32 v56, s0, v54, s2
	v_add_co_ci_u32_e64 v57, s0, s7, v55, s0
	global_load_dwordx2 v[54:55], v[54:55], off
	v_add_co_u32 v58, s0, v56, s2
	v_add_co_ci_u32_e64 v59, s0, s7, v57, s0
	global_load_dwordx2 v[56:57], v[56:57], off
	v_add_co_u32 v60, s0, v58, s2
	v_add_co_ci_u32_e64 v61, s0, s7, v59, s0
	global_load_dwordx2 v[58:59], v[58:59], off
	v_add_co_u32 v62, s0, v60, s2
	v_add_co_ci_u32_e64 v63, s0, s7, v61, s0
	global_load_dwordx2 v[60:61], v[60:61], off
	v_add_co_u32 v64, s0, v62, s2
	v_add_co_ci_u32_e64 v65, s0, s7, v63, s0
	global_load_dwordx2 v[62:63], v[62:63], off
	s_clause 0x1
	global_load_dwordx2 v[66:67], v[20:21], off offset:456
	global_load_dwordx2 v[20:21], v[20:21], off offset:896
	global_load_dwordx2 v[64:65], v[64:65], off
	s_waitcnt vmcnt(18)
	v_mul_f32_e32 v68, v1, v5
	v_mul_f32_e32 v5, v0, v5
	v_fmac_f32_e32 v68, v0, v4
	v_fma_f32 v69, v1, v4, -v5
	ds_write_b64 v71, v[68:69]
	s_waitcnt vmcnt(17)
	v_mul_f32_e32 v0, v3, v7
	v_mul_f32_e32 v1, v2, v7
	s_waitcnt vmcnt(15)
	v_mul_f32_e32 v4, v39, v11
	v_mul_f32_e32 v5, v38, v11
	v_fmac_f32_e32 v0, v2, v6
	v_mul_f32_e32 v2, v19, v9
	v_fma_f32 v1, v3, v6, -v1
	v_mul_f32_e32 v3, v18, v9
	s_waitcnt vmcnt(14)
	v_mul_f32_e32 v6, v41, v13
	v_mul_f32_e32 v7, v40, v13
	v_fmac_f32_e32 v2, v18, v8
	v_fmac_f32_e32 v4, v38, v10
	v_fma_f32 v3, v19, v8, -v3
	v_fma_f32 v5, v39, v10, -v5
	s_waitcnt vmcnt(13)
	v_mul_f32_e32 v8, v43, v23
	v_mul_f32_e32 v9, v42, v23
	s_waitcnt vmcnt(12)
	v_mul_f32_e32 v10, v45, v25
	v_mul_f32_e32 v11, v44, v25
	v_fmac_f32_e32 v6, v40, v12
	v_fma_f32 v7, v41, v12, -v7
	v_fmac_f32_e32 v8, v42, v22
	v_fma_f32 v9, v43, v22, -v9
	;; [unrolled: 2-line block ×3, first 2 shown]
	ds_write2_b64 v70, v[0:1], v[2:3] offset0:55 offset1:110
	ds_write2_b64 v70, v[4:5], v[6:7] offset0:165 offset1:220
	s_waitcnt vmcnt(11)
	v_mul_f32_e32 v0, v47, v27
	v_mul_f32_e32 v1, v46, v27
	s_waitcnt vmcnt(10)
	v_mul_f32_e32 v2, v49, v29
	v_mul_f32_e32 v3, v48, v29
	ds_write2_b64 v72, v[8:9], v[10:11] offset0:19 offset1:74
	v_fmac_f32_e32 v0, v46, v26
	s_waitcnt vmcnt(9)
	v_mul_f32_e32 v4, v51, v15
	v_mul_f32_e32 v5, v50, v15
	v_fma_f32 v1, v47, v26, -v1
	v_fmac_f32_e32 v2, v48, v28
	v_fma_f32 v3, v49, v28, -v3
	s_waitcnt vmcnt(8)
	v_mul_f32_e32 v6, v53, v31
	v_mul_f32_e32 v7, v52, v31
	v_fmac_f32_e32 v4, v50, v14
	v_fma_f32 v5, v51, v14, -v5
	s_waitcnt vmcnt(7)
	v_mul_f32_e32 v8, v55, v33
	v_mul_f32_e32 v9, v54, v33
	;; [unrolled: 5-line block ×6, first 2 shown]
	s_waitcnt vmcnt(0)
	v_mul_f32_e32 v18, v65, v21
	v_mul_f32_e32 v19, v64, v21
	v_fmac_f32_e32 v14, v60, v36
	v_fma_f32 v15, v61, v36, -v15
	v_fmac_f32_e32 v16, v62, v66
	v_fma_f32 v17, v63, v66, -v17
	;; [unrolled: 2-line block ×3, first 2 shown]
	v_add_nc_u32_e32 v20, 0x1800, v70
	ds_write2_b64 v72, v[0:1], v[2:3] offset0:129 offset1:184
	ds_write2_b64 v73, v[4:5], v[6:7] offset0:111 offset1:166
	ds_write2_b64 v74, v[8:9], v[10:11] offset0:93 offset1:148
	ds_write2_b64 v75, v[12:13], v[14:15] offset0:75 offset1:130
	ds_write2_b64 v20, v[16:17], v[18:19] offset0:57 offset1:112
.LBB0_3:
	s_or_b32 exec_lo, exec_lo, s1
	s_clause 0x1
	s_load_dwordx2 s[0:1], s[4:5], 0x20
	s_load_dwordx2 s[2:3], s[4:5], 0x8
	v_mov_b32_e32 v4, 0
	v_mov_b32_e32 v5, 0
	s_waitcnt lgkmcnt(0)
	s_barrier
	buffer_gl0_inv
                                        ; implicit-def: $vgpr26
                                        ; implicit-def: $vgpr20
                                        ; implicit-def: $vgpr16
                                        ; implicit-def: $vgpr8
                                        ; implicit-def: $vgpr12
                                        ; implicit-def: $vgpr34
                                        ; implicit-def: $vgpr38
                                        ; implicit-def: $vgpr30
	s_and_saveexec_b32 s4, vcc_lo
	s_cbranch_execz .LBB0_5
; %bb.4:
	v_lshl_add_u32 v0, v89, 3, v87
	v_add_nc_u32_e32 v1, 0x400, v0
	v_add_nc_u32_e32 v2, 0x800, v0
	;; [unrolled: 1-line block ×4, first 2 shown]
	ds_read2_b64 v[4:7], v0 offset1:55
	ds_read2_b64 v[28:31], v0 offset0:110 offset1:165
	ds_read2_b64 v[36:39], v1 offset0:92 offset1:147
	;; [unrolled: 1-line block ×7, first 2 shown]
	ds_read_b64 v[12:13], v0 offset:7040
.LBB0_5:
	s_or_b32 exec_lo, exec_lo, s4
	s_waitcnt lgkmcnt(0)
	v_sub_f32_e32 v40, v7, v13
	v_add_f32_e32 v46, v12, v6
	v_sub_f32_e32 v42, v29, v11
	v_add_f32_e32 v48, v10, v28
	v_sub_f32_e32 v44, v31, v9
	v_mul_f32_e32 v56, 0xbeb8f4ab, v40
	v_add_f32_e32 v50, v8, v30
	v_mul_f32_e32 v59, 0xbf2c7751, v42
	v_sub_f32_e32 v120, v37, v19
	v_mul_f32_e32 v62, 0xbf65296c, v44
	v_fmamk_f32 v0, v46, 0x3f6eb680, v56
	v_add_f32_e32 v57, v18, v36
	v_fmamk_f32 v2, v48, 0x3f3d2fb0, v59
	v_mul_f32_e32 v66, 0xbf7ee86f, v120
	v_sub_f32_e32 v124, v39, v17
	v_add_f32_e32 v0, v0, v4
	v_sub_f32_e32 v41, v6, v12
	v_add_f32_e32 v60, v16, v38
	v_sub_f32_e32 v126, v33, v23
	v_mul_f32_e32 v72, 0xbf763a35, v124
	v_add_f32_e32 v0, v2, v0
	v_fmamk_f32 v2, v50, 0x3ee437d1, v62
	v_add_f32_e32 v47, v13, v7
	v_mul_f32_e32 v63, 0xbeb8f4ab, v41
	v_sub_f32_e32 v43, v28, v10
	v_add_f32_e32 v64, v22, v32
	v_add_f32_e32 v0, v2, v0
	v_fmamk_f32 v2, v57, 0x3dbcf732, v66
	v_mul_f32_e32 v77, 0xbf4c4adb, v126
	v_sub_f32_e32 v129, v35, v21
	v_fma_f32 v1, 0x3f6eb680, v47, -v63
	v_add_f32_e32 v49, v11, v29
	v_add_f32_e32 v0, v2, v0
	v_fmamk_f32 v2, v60, 0xbe8c1d8e, v72
	v_mul_f32_e32 v68, 0xbf2c7751, v43
	v_sub_f32_e32 v45, v30, v8
	v_add_f32_e32 v69, v20, v34
	v_mul_f32_e32 v79, 0xbf06c442, v129
	v_add_f32_e32 v0, v2, v0
	v_fmamk_f32 v2, v64, 0xbf1a4643, v77
	v_sub_f32_e32 v136, v25, v27
	v_add_f32_e32 v1, v1, v5
	v_mul_f32_e32 v71, 0xbf2c7751, v40
	v_mul_f32_e32 v76, 0xbf2c7751, v41
	v_fma_f32 v3, 0x3f3d2fb0, v49, -v68
	v_add_f32_e32 v51, v9, v31
	v_mul_f32_e32 v67, 0xbf65296c, v45
	v_sub_f32_e32 v123, v36, v18
	v_add_f32_e32 v0, v2, v0
	v_fmamk_f32 v2, v69, 0xbf59a7d5, v79
	v_add_f32_e32 v74, v26, v24
	v_mul_f32_e32 v81, 0xbe3c28d5, v136
	v_add_f32_e32 v1, v3, v1
	v_fma_f32 v3, 0x3ee437d1, v51, -v67
	v_add_f32_e32 v58, v19, v37
	v_mul_f32_e32 v73, 0xbf7ee86f, v123
	v_sub_f32_e32 v125, v38, v16
	v_fmamk_f32 v14, v46, 0x3f3d2fb0, v71
	v_add_f32_e32 v0, v2, v0
	v_fmamk_f32 v2, v74, 0xbf7ba420, v81
	v_mul_f32_e32 v96, 0xbf7ee86f, v42
	v_fma_f32 v15, 0x3f3d2fb0, v47, -v76
	v_mul_f32_e32 v99, 0xbf7ee86f, v43
	v_add_f32_e32 v1, v3, v1
	v_fma_f32 v3, 0x3dbcf732, v58, -v73
	v_add_f32_e32 v61, v17, v39
	v_mul_f32_e32 v78, 0xbf763a35, v125
	v_sub_f32_e32 v127, v32, v22
	v_add_f32_e32 v14, v14, v4
	v_add_f32_e32 v85, v2, v0
	v_fmamk_f32 v0, v48, 0x3dbcf732, v96
	v_mul_f32_e32 v98, 0xbf4c4adb, v44
	v_add_f32_e32 v2, v15, v5
	v_fma_f32 v15, 0x3dbcf732, v49, -v99
	v_mul_f32_e32 v100, 0xbf4c4adb, v45
	v_add_f32_e32 v1, v3, v1
	v_fma_f32 v3, 0xbe8c1d8e, v61, -v78
	v_add_f32_e32 v65, v23, v33
	v_mul_f32_e32 v80, 0xbf4c4adb, v127
	v_sub_f32_e32 v135, v34, v20
	v_add_f32_e32 v0, v0, v14
	v_fmamk_f32 v14, v50, 0xbf1a4643, v98
	v_mul_f32_e32 v97, 0xbe3c28d5, v120
	v_add_f32_e32 v2, v15, v2
	v_fma_f32 v15, 0xbf1a4643, v51, -v100
	v_mul_f32_e32 v102, 0xbe3c28d5, v123
	v_add_f32_e32 v1, v3, v1
	v_fma_f32 v3, 0xbf1a4643, v65, -v80
	v_add_f32_e32 v70, v21, v35
	v_mul_f32_e32 v82, 0xbf06c442, v135
	v_sub_f32_e32 v140, v24, v26
	v_add_f32_e32 v0, v14, v0
	v_fmamk_f32 v14, v57, 0xbf7ba420, v97
	v_mul_f32_e32 v95, 0x3f06c442, v124
	v_add_f32_e32 v2, v15, v2
	v_fma_f32 v15, 0xbf7ba420, v58, -v102
	v_mul_f32_e32 v104, 0x3f06c442, v125
	v_add_f32_e32 v1, v3, v1
	v_fma_f32 v3, 0xbf59a7d5, v70, -v82
	v_add_f32_e32 v75, v27, v25
	v_mul_f32_e32 v83, 0xbe3c28d5, v140
	v_add_f32_e32 v0, v14, v0
	v_fmamk_f32 v14, v60, 0xbf59a7d5, v95
	v_mul_f32_e32 v92, 0x3f763a35, v126
	v_add_f32_e32 v2, v15, v2
	v_fma_f32 v15, 0xbf59a7d5, v61, -v104
	v_mul_f32_e32 v103, 0x3f763a35, v127
	v_add_f32_e32 v1, v3, v1
	v_fma_f32 v3, 0xbf7ba420, v75, -v83
	v_add_f32_e32 v0, v14, v0
	v_fmamk_f32 v14, v64, 0xbe8c1d8e, v92
	v_mul_f32_e32 v93, 0x3f65296c, v129
	v_add_f32_e32 v2, v15, v2
	v_fma_f32 v15, 0xbe8c1d8e, v65, -v103
	v_mul_f32_e32 v105, 0x3f65296c, v135
	v_add_f32_e32 v0, v14, v0
	v_fmamk_f32 v14, v69, 0x3ee437d1, v93
	v_add_f32_e32 v86, v3, v1
	v_add_f32_e32 v1, v15, v2
	v_fma_f32 v2, 0x3ee437d1, v70, -v105
	v_mul_f32_e32 v94, 0x3eb8f4ab, v136
	v_mul_f32_e32 v110, 0xbf65296c, v40
	v_add_f32_e32 v0, v14, v0
	v_mul_f32_e32 v118, 0xbf65296c, v41
	v_add_f32_e32 v1, v2, v1
	v_fmamk_f32 v2, v74, 0x3f6eb680, v94
	v_fmamk_f32 v14, v46, 0x3ee437d1, v110
	v_mul_f32_e32 v113, 0xbf4c4adb, v42
	v_mul_f32_e32 v119, 0xbf4c4adb, v43
	;; [unrolled: 1-line block ×3, first 2 shown]
	v_add_f32_e32 v2, v2, v0
	v_fma_f32 v0, 0x3ee437d1, v47, -v118
	v_add_f32_e32 v14, v14, v4
	v_fmamk_f32 v15, v48, 0xbf1a4643, v113
	v_fma_f32 v52, 0xbf1a4643, v49, -v119
	v_mul_f32_e32 v121, 0x3e3c28d5, v45
	v_add_f32_e32 v0, v0, v5
	v_mul_f32_e32 v107, 0x3f763a35, v120
	v_add_f32_e32 v14, v15, v14
	v_fmamk_f32 v15, v50, 0xbf7ba420, v106
	v_mul_f32_e32 v122, 0x3f763a35, v123
	v_add_f32_e32 v0, v52, v0
	v_fma_f32 v52, 0xbf7ba420, v51, -v121
	v_mul_f32_e32 v108, 0x3f2c7751, v124
	v_add_f32_e32 v14, v15, v14
	v_fmamk_f32 v15, v57, 0xbe8c1d8e, v107
	v_mul_f32_e32 v116, 0x3f2c7751, v125
	v_add_f32_e32 v0, v52, v0
	v_fma_f32 v52, 0xbe8c1d8e, v58, -v122
	;; [unrolled: 6-line block ×3, first 2 shown]
	v_mul_f32_e32 v117, 0xbeb8f4ab, v127
	v_add_f32_e32 v14, v15, v14
	v_fmamk_f32 v15, v64, 0x3f6eb680, v111
	v_mul_f32_e32 v109, 0xbf7ee86f, v129
	v_fma_f32 v3, 0x3f6eb680, v75, -v101
	v_add_f32_e32 v0, v52, v0
	v_fma_f32 v52, 0x3f6eb680, v65, -v117
	v_mul_f32_e32 v114, 0xbf7ee86f, v135
	v_add_f32_e32 v14, v15, v14
	v_fmamk_f32 v15, v69, 0x3dbcf732, v109
	v_mul_f32_e32 v112, 0xbf06c442, v136
	v_add_f32_e32 v0, v52, v0
	v_fma_f32 v52, 0x3dbcf732, v70, -v114
	v_add_f32_e32 v3, v3, v1
	v_add_f32_e32 v1, v15, v14
	v_fmamk_f32 v14, v74, 0xbf59a7d5, v112
	v_mul_f32_e32 v128, 0xbf7ee86f, v40
	v_add_f32_e32 v15, v52, v0
	v_mul_f32_e32 v131, 0xbe3c28d5, v42
	v_mul_f32_e32 v146, 0xbf7ee86f, v41
	v_add_f32_e32 v0, v14, v1
	v_fmamk_f32 v1, v46, 0x3dbcf732, v128
	v_mul_f32_e32 v132, 0x3f763a35, v44
	v_fmamk_f32 v53, v48, 0xbf7ba420, v131
	v_fma_f32 v52, 0x3dbcf732, v47, -v146
	v_mul_f32_e32 v148, 0xbe3c28d5, v43
	v_add_f32_e32 v1, v1, v4
	v_mul_f32_e32 v133, 0x3eb8f4ab, v120
	v_mul_f32_e32 v115, 0xbf06c442, v140
	v_add_f32_e32 v52, v52, v5
	v_fma_f32 v54, 0xbf7ba420, v49, -v148
	v_add_f32_e32 v1, v53, v1
	v_fmamk_f32 v53, v50, 0xbe8c1d8e, v132
	v_mul_f32_e32 v149, 0x3f763a35, v45
	v_mul_f32_e32 v134, 0xbf65296c, v124
	v_fma_f32 v14, 0xbf59a7d5, v75, -v115
	v_add_f32_e32 v52, v54, v52
	v_add_f32_e32 v1, v53, v1
	v_fmamk_f32 v53, v57, 0x3f6eb680, v133
	v_fma_f32 v54, 0xbe8c1d8e, v51, -v149
	v_mul_f32_e32 v142, 0x3eb8f4ab, v123
	v_fmamk_f32 v55, v60, 0x3ee437d1, v134
	v_mul_f32_e32 v130, 0xbf06c442, v126
	v_add_f32_e32 v53, v53, v1
	v_add_f32_e32 v52, v54, v52
	v_fma_f32 v54, 0x3f6eb680, v58, -v142
	v_mul_f32_e32 v144, 0xbf65296c, v125
	v_add_f32_e32 v1, v14, v15
	v_add_f32_e32 v14, v55, v53
	v_fmamk_f32 v15, v64, 0xbf59a7d5, v130
	v_mul_f32_e32 v173, 0xbf763a35, v40
	v_add_f32_e32 v52, v54, v52
	v_fma_f32 v54, 0x3ee437d1, v61, -v144
	v_mul_f32_e32 v152, 0xbf06c442, v127
	v_mul_f32_e32 v137, 0x3f4c4adb, v129
	v_add_f32_e32 v14, v15, v14
	v_fmamk_f32 v15, v46, 0xbe8c1d8e, v173
	v_mul_f32_e32 v175, 0x3f06c442, v42
	v_add_f32_e32 v52, v54, v52
	v_fma_f32 v53, 0xbf59a7d5, v65, -v152
	v_fmamk_f32 v54, v69, 0xbf1a4643, v137
	v_mul_f32_e32 v153, 0x3f4c4adb, v135
	v_add_f32_e32 v15, v15, v4
	v_fmamk_f32 v55, v48, 0xbf59a7d5, v175
	v_mul_f32_e32 v174, 0x3f2c7751, v44
	v_add_f32_e32 v52, v53, v52
	v_fma_f32 v53, 0xbf1a4643, v70, -v153
	v_add_f32_e32 v14, v54, v14
	v_add_f32_e32 v15, v55, v15
	v_fmamk_f32 v54, v50, 0x3f3d2fb0, v174
	v_mul_f32_e32 v172, 0xbf65296c, v120
	v_mul_f32_e32 v183, 0xbf763a35, v41
	v_add_f32_e32 v52, v53, v52
	v_mul_f32_e32 v179, 0xbe3c28d5, v124
	v_add_f32_e32 v15, v54, v15
	v_fmamk_f32 v53, v57, 0x3ee437d1, v172
	v_fma_f32 v54, 0xbe8c1d8e, v47, -v183
	v_mul_f32_e32 v185, 0x3f06c442, v43
	v_mul_f32_e32 v178, 0x3f7ee86f, v126
	;; [unrolled: 1-line block ×3, first 2 shown]
	v_add_f32_e32 v15, v53, v15
	v_fmamk_f32 v53, v60, 0xbf7ba420, v179
	v_add_f32_e32 v54, v54, v5
	v_fma_f32 v55, 0xbf59a7d5, v49, -v185
	v_mul_f32_e32 v143, 0x3f2c7751, v136
	v_mul_f32_e32 v181, 0xbf65296c, v123
	v_add_f32_e32 v15, v53, v15
	v_fmamk_f32 v53, v64, 0x3dbcf732, v178
	v_add_f32_e32 v54, v55, v54
	v_fma_f32 v55, 0x3f3d2fb0, v51, -v182
	v_fmamk_f32 v91, v74, 0x3f3d2fb0, v143
	v_mul_f32_e32 v180, 0xbe3c28d5, v125
	v_add_f32_e32 v15, v53, v15
	v_mul_f32_e32 v176, 0xbeb8f4ab, v129
	v_add_f32_e32 v53, v55, v54
	v_fma_f32 v55, 0x3ee437d1, v58, -v181
	v_add_f32_e32 v54, v91, v14
	v_mul_f32_e32 v188, 0xbf4c4adb, v40
	v_mul_f32_e32 v202, 0xbf4c4adb, v41
	v_fmamk_f32 v139, v69, 0x3f6eb680, v176
	v_add_f32_e32 v14, v55, v53
	v_fma_f32 v53, 0xbf7ba420, v61, -v180
	v_mul_f32_e32 v184, 0x3f7ee86f, v127
	v_mul_f32_e32 v190, 0x3f763a35, v42
	v_fma_f32 v55, 0xbf1a4643, v47, -v202
	v_mul_f32_e32 v203, 0x3f763a35, v43
	v_add_f32_e32 v14, v53, v14
	v_fmamk_f32 v53, v46, 0xbf1a4643, v188
	v_add_f32_e32 v15, v139, v15
	v_fma_f32 v139, 0x3dbcf732, v65, -v184
	v_fmamk_f32 v141, v48, 0xbe8c1d8e, v190
	v_add_f32_e32 v55, v55, v5
	v_add_f32_e32 v53, v53, v4
	v_fma_f32 v145, 0xbe8c1d8e, v49, -v203
	v_mul_f32_e32 v192, 0xbeb8f4ab, v44
	v_mul_f32_e32 v197, 0xbeb8f4ab, v45
	v_add_f32_e32 v14, v139, v14
	v_add_f32_e32 v53, v141, v53
	;; [unrolled: 1-line block ×3, first 2 shown]
	v_fmamk_f32 v139, v50, 0x3f6eb680, v192
	v_fma_f32 v141, 0x3f6eb680, v51, -v197
	v_mul_f32_e32 v193, 0xbf06c442, v120
	v_mul_f32_e32 v198, 0xbf06c442, v123
	v_mul_f32_e32 v194, 0x3f7ee86f, v124
	v_add_f32_e32 v53, v139, v53
	v_add_f32_e32 v55, v141, v55
	v_fmamk_f32 v139, v57, 0xbf59a7d5, v193
	v_fma_f32 v141, 0xbf59a7d5, v58, -v198
	v_mul_f32_e32 v199, 0x3f7ee86f, v125
	v_mul_f32_e32 v196, 0xbf2c7751, v126
	v_mul_f32_e32 v200, 0xbf2c7751, v127
	v_add_f32_e32 v53, v139, v53
	v_add_f32_e32 v55, v141, v55
	;; [unrolled: 7-line block ×3, first 2 shown]
	v_fmamk_f32 v139, v64, 0x3f3d2fb0, v196
	v_fma_f32 v141, 0x3f3d2fb0, v65, -v200
	v_mul_f32_e32 v158, 0x3f2c7751, v140
	v_mul_f32_e32 v177, 0xbf4c4adb, v136
	v_fma_f32 v145, 0x3f6eb680, v70, -v186
	v_mul_f32_e32 v187, 0xbf4c4adb, v140
	v_add_f32_e32 v53, v139, v53
	v_add_f32_e32 v55, v141, v55
	v_fmamk_f32 v139, v69, 0xbf7ba420, v189
	v_fma_f32 v141, 0xbf7ba420, v70, -v201
	v_mul_f32_e32 v191, 0x3f65296c, v136
	v_mul_f32_e32 v195, 0x3f65296c, v140
	v_fma_f32 v138, 0x3f3d2fb0, v75, -v158
	v_fmamk_f32 v91, v74, 0xbf1a4643, v177
	v_add_f32_e32 v14, v145, v14
	v_fma_f32 v145, 0xbf1a4643, v75, -v187
	v_add_f32_e32 v139, v139, v53
	v_add_f32_e32 v141, v141, v55
	v_fmamk_f32 v147, v74, 0x3ee437d1, v191
	v_fma_f32 v150, 0x3ee437d1, v75, -v195
	v_add_f32_e32 v55, v138, v52
	v_add_f32_e32 v52, v91, v15
	;; [unrolled: 1-line block ×5, first 2 shown]
	v_mul_lo_u16 v91, v88, 17
	s_barrier
	buffer_gl0_inv
	s_and_saveexec_b32 s4, vcc_lo
	s_cbranch_execz .LBB0_7
; %bb.6:
	v_mul_f32_e32 v157, 0xbe3c28d5, v41
	v_mul_f32_e32 v156, 0x3eb8f4ab, v43
	;; [unrolled: 1-line block ×5, first 2 shown]
	v_fmamk_f32 v141, v47, 0xbf7ba420, v157
	v_fmamk_f32 v147, v49, 0x3f6eb680, v156
	v_fma_f32 v145, 0xbf7ba420, v46, -v154
	v_mul_f32_e32 v139, 0xbf06c442, v44
	v_mul_f32_e32 v160, 0x3f2c7751, v123
	v_add_f32_e32 v150, v141, v5
	v_fma_f32 v151, 0x3f6eb680, v48, -v138
	v_add_f32_e32 v145, v145, v4
	v_fmamk_f32 v155, v51, 0xbf59a7d5, v159
	v_mul_f32_e32 v141, 0x3f2c7751, v120
	v_add_f32_e32 v147, v147, v150
	v_fma_f32 v150, 0xbf59a7d5, v50, -v139
	v_add_f32_e32 v145, v151, v145
	v_mul_f32_e32 v162, 0xbf4c4adb, v125
	v_fmamk_f32 v151, v58, 0x3f3d2fb0, v160
	v_add_f32_e32 v147, v155, v147
	v_fma_f32 v155, 0x3f3d2fb0, v57, -v141
	v_add_f32_e32 v150, v150, v145
	v_mul_f32_e32 v145, 0xbf4c4adb, v124
	v_mul_f32_e32 v164, 0x3f65296c, v127
	v_add_f32_e32 v151, v151, v147
	v_fmamk_f32 v161, v61, 0xbf1a4643, v162
	v_add_f32_e32 v150, v155, v150
	v_fma_f32 v155, 0xbf1a4643, v60, -v145
	v_mul_f32_e32 v147, 0x3f65296c, v126
	v_fmamk_f32 v163, v65, 0x3ee437d1, v164
	v_add_f32_e32 v151, v161, v151
	v_mul_f32_e32 v165, 0xbf763a35, v135
	v_add_f32_e32 v155, v155, v150
	v_fma_f32 v161, 0x3ee437d1, v64, -v147
	v_mul_f32_e32 v150, 0xbf763a35, v129
	v_add_f32_e32 v163, v163, v151
	v_fmamk_f32 v166, v70, 0xbe8c1d8e, v165
	v_mul_f32_e32 v151, 0x3f7ee86f, v140
	v_add_f32_e32 v155, v161, v155
	v_mul_f32_e32 v161, 0xbf06c442, v41
	v_fma_f32 v167, 0xbe8c1d8e, v69, -v150
	v_add_f32_e32 v166, v166, v163
	v_fmamk_f32 v168, v75, 0x3dbcf732, v151
	v_mul_f32_e32 v163, 0xbf06c442, v40
	v_fmamk_f32 v40, v47, 0xbf59a7d5, v161
	v_add_f32_e32 v204, v167, v155
	v_mul_f32_e32 v169, 0xbf7ee86f, v45
	v_add_f32_e32 v41, v168, v166
	v_mul_f32_e32 v168, 0x3f65296c, v43
	v_fma_f32 v43, 0xbf59a7d5, v46, -v163
	v_mul_f32_e32 v166, 0x3f65296c, v42
	v_add_f32_e32 v40, v40, v5
	v_mul_f32_e32 v167, 0xbf7ee86f, v44
	v_fmamk_f32 v42, v49, 0x3ee437d1, v168
	v_add_f32_e32 v43, v43, v4
	v_fma_f32 v45, 0x3ee437d1, v48, -v166
	v_mul_f32_e32 v170, 0x3f4c4adb, v123
	v_fma_f32 v44, 0x3dbcf732, v50, -v167
	v_add_f32_e32 v40, v42, v40
	v_fmamk_f32 v42, v51, 0x3dbcf732, v169
	v_add_f32_e32 v43, v45, v43
	v_mul_f32_e32 v123, 0x3f4c4adb, v120
	v_mul_f32_e32 v171, 0xbeb8f4ab, v125
	;; [unrolled: 1-line block ×3, first 2 shown]
	v_add_f32_e32 v40, v42, v40
	v_fmamk_f32 v42, v58, 0xbf1a4643, v170
	v_add_f32_e32 v43, v44, v43
	v_fma_f32 v44, 0xbf1a4643, v57, -v123
	v_mul_f32_e32 v155, 0x3f7ee86f, v136
	v_mul_f32_e32 v127, 0xbe3c28d5, v127
	v_add_f32_e32 v40, v42, v40
	v_fmamk_f32 v42, v61, 0x3f6eb680, v171
	v_add_f32_e32 v43, v44, v43
	v_fma_f32 v44, 0x3f6eb680, v60, -v124
	v_mul_f32_e32 v125, 0xbe3c28d5, v126
	v_fma_f32 v45, 0x3dbcf732, v74, -v155
	v_add_f32_e32 v40, v42, v40
	v_fmamk_f32 v42, v65, 0xbf7ba420, v127
	v_add_f32_e32 v43, v44, v43
	v_fma_f32 v44, 0xbf7ba420, v64, -v125
	v_mul_f32_e32 v120, 0x3f2c7751, v129
	v_mul_f32_e32 v126, 0x3f2c7751, v135
	v_add_f32_e32 v42, v42, v40
	v_add_f32_e32 v40, v45, v204
	;; [unrolled: 1-line block ×3, first 2 shown]
	v_mul_f32_e32 v44, 0xbf1a4643, v47
	v_fma_f32 v135, 0x3f3d2fb0, v69, -v120
	v_mul_f32_e32 v45, 0xbe8c1d8e, v49
	v_fmamk_f32 v129, v70, 0x3f3d2fb0, v126
	v_add_f32_e32 v6, v6, v4
	v_add_f32_e32 v44, v202, v44
	;; [unrolled: 1-line block ×4, first 2 shown]
	v_mul_f32_e32 v45, 0xbf1a4643, v46
	v_add_f32_e32 v42, v129, v42
	v_mul_f32_e32 v129, 0xbf763a35, v140
	v_add_f32_e32 v44, v44, v5
	v_mul_f32_e32 v140, 0x3f6eb680, v51
	v_mul_f32_e32 v135, 0xbf763a35, v136
	;; [unrolled: 1-line block ×3, first 2 shown]
	v_sub_f32_e32 v45, v45, v188
	v_add_f32_e32 v43, v43, v44
	v_add_f32_e32 v44, v197, v140
	v_mul_f32_e32 v140, 0xbf59a7d5, v58
	v_sub_f32_e32 v136, v136, v190
	v_add_f32_e32 v45, v45, v4
	v_mul_f32_e32 v188, 0x3f6eb680, v50
	v_add_f32_e32 v43, v44, v43
	v_add_f32_e32 v44, v198, v140
	v_mul_f32_e32 v140, 0x3dbcf732, v61
	v_add_f32_e32 v45, v136, v45
	v_sub_f32_e32 v136, v188, v192
	v_mul_f32_e32 v188, 0xbf59a7d5, v57
	v_add_f32_e32 v43, v44, v43
	v_add_f32_e32 v44, v199, v140
	v_mul_f32_e32 v140, 0x3f3d2fb0, v65
	v_add_f32_e32 v45, v136, v45
	v_sub_f32_e32 v136, v188, v193
	v_mul_f32_e32 v190, 0x3dbcf732, v60
	v_add_f32_e32 v43, v44, v43
	v_add_f32_e32 v44, v200, v140
	v_fmamk_f32 v188, v75, 0xbe8c1d8e, v129
	v_add_f32_e32 v45, v136, v45
	v_mul_f32_e32 v136, 0xbf7ba420, v70
	v_sub_f32_e32 v140, v190, v194
	v_mul_f32_e32 v190, 0x3f3d2fb0, v64
	v_add_f32_e32 v44, v44, v43
	v_add_f32_e32 v43, v188, v42
	;; [unrolled: 1-line block ×4, first 2 shown]
	v_sub_f32_e32 v140, v190, v196
	v_mul_f32_e32 v188, 0xbf7ba420, v69
	v_mul_f32_e32 v190, 0xbf59a7d5, v49
	v_add_f32_e32 v44, v136, v44
	v_mul_f32_e32 v136, 0xbe8c1d8e, v47
	v_add_f32_e32 v45, v140, v45
	v_mul_f32_e32 v140, 0x3ee437d1, v75
	v_sub_f32_e32 v188, v188, v189
	v_mul_f32_e32 v189, 0x3ee437d1, v74
	v_add_f32_e32 v136, v183, v136
	v_add_f32_e32 v185, v185, v190
	;; [unrolled: 1-line block ×4, first 2 shown]
	v_sub_f32_e32 v188, v189, v191
	v_add_f32_e32 v136, v136, v5
	v_add_f32_e32 v6, v28, v6
	;; [unrolled: 1-line block ×3, first 2 shown]
	v_mul_f32_e32 v140, 0xbe8c1d8e, v46
	v_add_f32_e32 v44, v188, v183
	v_mul_f32_e32 v183, 0x3f3d2fb0, v51
	v_add_f32_e32 v136, v185, v136
	v_mul_f32_e32 v185, 0xbf59a7d5, v48
	v_sub_f32_e32 v140, v140, v173
	v_mul_f32_e32 v188, 0xbf7ba420, v48
	v_add_f32_e32 v182, v182, v183
	v_mul_f32_e32 v183, 0x3ee437d1, v58
	v_sub_f32_e32 v175, v185, v175
	v_add_f32_e32 v140, v140, v4
	v_sub_f32_e32 v131, v188, v131
	v_add_f32_e32 v136, v182, v136
	v_mul_f32_e32 v182, 0x3f3d2fb0, v50
	v_add_f32_e32 v181, v181, v183
	v_add_f32_e32 v140, v175, v140
	v_mul_f32_e32 v175, 0xbf7ba420, v61
	v_mul_f32_e32 v183, 0x3f3d2fb0, v46
	v_sub_f32_e32 v174, v182, v174
	v_add_f32_e32 v136, v181, v136
	v_mul_f32_e32 v181, 0x3ee437d1, v57
	v_add_f32_e32 v175, v180, v175
	v_sub_f32_e32 v71, v183, v71
	v_add_f32_e32 v140, v174, v140
	v_mul_f32_e32 v174, 0x3dbcf732, v65
	v_sub_f32_e32 v172, v181, v172
	v_add_f32_e32 v136, v175, v136
	v_mul_f32_e32 v175, 0xbf7ba420, v60
	v_add_f32_e32 v71, v71, v4
	v_add_f32_e32 v174, v184, v174
	;; [unrolled: 1-line block ×3, first 2 shown]
	v_mul_f32_e32 v172, 0x3f6eb680, v70
	v_sub_f32_e32 v175, v175, v179
	v_mul_f32_e32 v179, 0x3dbcf732, v47
	v_add_f32_e32 v136, v174, v136
	v_mul_f32_e32 v174, 0x3dbcf732, v64
	v_mul_f32_e32 v184, 0x3dbcf732, v46
	v_add_f32_e32 v140, v175, v140
	v_mul_f32_e32 v175, 0xbf1a4643, v75
	v_add_f32_e32 v146, v146, v179
	v_sub_f32_e32 v174, v174, v178
	v_add_f32_e32 v172, v186, v172
	v_sub_f32_e32 v128, v184, v128
	v_add_f32_e32 v175, v187, v175
	v_mul_f32_e32 v187, 0x3f6eb680, v69
	v_add_f32_e32 v140, v174, v140
	v_mul_f32_e32 v174, 0xbf7ba420, v49
	v_add_f32_e32 v146, v146, v5
	v_add_f32_e32 v136, v172, v136
	v_sub_f32_e32 v176, v187, v176
	v_mul_f32_e32 v187, 0xbf1a4643, v74
	v_add_f32_e32 v148, v148, v174
	v_mul_f32_e32 v172, 0x3dbcf732, v48
	v_add_f32_e32 v128, v128, v4
	v_add_f32_e32 v140, v176, v140
	v_mul_f32_e32 v176, 0xbe8c1d8e, v51
	v_sub_f32_e32 v177, v187, v177
	v_add_f32_e32 v146, v148, v146
	v_sub_f32_e32 v96, v172, v96
	v_mul_f32_e32 v185, 0x3f6eb680, v47
	v_add_f32_e32 v176, v149, v176
	v_add_f32_e32 v148, v177, v140
	v_mul_f32_e32 v140, 0x3f6eb680, v58
	v_add_f32_e32 v149, v175, v136
	v_mul_f32_e32 v175, 0xbf1a4643, v50
	;; [unrolled: 2-line block ×5, first 2 shown]
	v_add_f32_e32 v71, v96, v71
	v_add_f32_e32 v140, v140, v146
	;; [unrolled: 1-line block ×3, first 2 shown]
	v_mul_f32_e32 v146, 0xbe8c1d8e, v50
	v_sub_f32_e32 v96, v175, v98
	v_mul_f32_e32 v178, 0x3f3d2fb0, v49
	v_mul_f32_e32 v187, 0xbf1a4643, v49
	v_add_f32_e32 v140, v142, v140
	v_mul_f32_e32 v142, 0x3f6eb680, v57
	v_sub_f32_e32 v132, v146, v132
	v_add_f32_e32 v131, v152, v131
	v_add_f32_e32 v118, v118, v181
	;; [unrolled: 1-line block ×3, first 2 shown]
	v_sub_f32_e32 v133, v142, v133
	v_mul_f32_e32 v142, 0xbf7ba420, v57
	v_add_f32_e32 v128, v132, v128
	v_mul_f32_e32 v132, 0xbf1a4643, v70
	v_add_f32_e32 v71, v96, v71
	v_mul_f32_e32 v180, 0x3ee437d1, v46
	v_sub_f32_e32 v96, v142, v97
	v_add_f32_e32 v97, v7, v5
	v_mul_f32_e32 v136, 0x3ee437d1, v51
	v_mul_f32_e32 v144, 0xbf7ba420, v51
	v_add_f32_e32 v131, v131, v140
	v_mul_f32_e32 v140, 0x3ee437d1, v60
	v_add_f32_e32 v132, v153, v132
	v_add_f32_e32 v128, v133, v128
	v_mul_f32_e32 v133, 0x3f3d2fb0, v75
	v_add_f32_e32 v119, v119, v187
	v_add_f32_e32 v118, v118, v5
	;; [unrolled: 1-line block ×5, first 2 shown]
	v_mul_f32_e32 v182, 0x3f3d2fb0, v47
	v_mul_f32_e32 v174, 0xbf1a4643, v48
	;; [unrolled: 1-line block ×3, first 2 shown]
	v_sub_f32_e32 v134, v140, v134
	v_add_f32_e32 v131, v132, v131
	v_mul_f32_e32 v132, 0xbe8c1d8e, v58
	v_add_f32_e32 v133, v158, v133
	v_mul_f32_e32 v158, 0xbf59a7d5, v64
	v_add_f32_e32 v118, v119, v118
	v_add_f32_e32 v121, v121, v144
	v_sub_f32_e32 v110, v180, v110
	v_add_f32_e32 v63, v68, v63
	v_add_f32_e32 v67, v67, v136
	;; [unrolled: 1-line block ×3, first 2 shown]
	v_mul_f32_e32 v179, 0x3dbcf732, v49
	v_mul_f32_e32 v177, 0xbf7ba420, v50
	v_add_f32_e32 v128, v134, v128
	v_mul_f32_e32 v181, 0xbe8c1d8e, v61
	v_sub_f32_e32 v130, v158, v130
	v_mul_f32_e32 v158, 0xbf1a4643, v69
	v_mul_f32_e32 v119, 0x3f3d2fb0, v74
	;; [unrolled: 1-line block ×3, first 2 shown]
	v_add_f32_e32 v121, v121, v118
	v_add_f32_e32 v122, v122, v132
	v_sub_f32_e32 v113, v174, v113
	v_add_f32_e32 v110, v110, v4
	v_add_f32_e32 v76, v76, v182
	;; [unrolled: 1-line block ×6, first 2 shown]
	v_mul_f32_e32 v176, 0xbf1a4643, v51
	v_mul_f32_e32 v140, 0xbe8c1d8e, v57
	v_add_f32_e32 v128, v130, v128
	v_sub_f32_e32 v137, v158, v137
	v_sub_f32_e32 v143, v119, v143
	v_add_f32_e32 v119, v133, v131
	v_mul_f32_e32 v131, 0x3f6eb680, v65
	v_add_f32_e32 v121, v122, v121
	v_add_f32_e32 v116, v116, v144
	;; [unrolled: 1-line block ×3, first 2 shown]
	v_sub_f32_e32 v106, v177, v106
	v_add_f32_e32 v99, v99, v179
	v_add_f32_e32 v76, v76, v5
	;; [unrolled: 1-line block ×6, first 2 shown]
	v_mul_f32_e32 v153, 0xbf7ba420, v58
	v_mul_f32_e32 v158, 0x3f3d2fb0, v60
	v_add_f32_e32 v128, v137, v128
	v_add_f32_e32 v116, v116, v121
	;; [unrolled: 1-line block ×3, first 2 shown]
	v_mul_f32_e32 v131, 0x3dbcf732, v70
	v_add_f32_e32 v106, v106, v110
	v_sub_f32_e32 v107, v140, v107
	v_add_f32_e32 v76, v99, v76
	v_add_f32_e32 v99, v100, v176
	;; [unrolled: 1-line block ×5, first 2 shown]
	v_mul_f32_e32 v130, 0xbf59a7d5, v61
	v_add_f32_e32 v118, v143, v128
	v_mul_f32_e32 v128, 0x3f6eb680, v64
	v_mul_f32_e32 v140, 0xbf59a7d5, v75
	v_add_f32_e32 v100, v117, v116
	v_add_f32_e32 v114, v114, v131
	;; [unrolled: 1-line block ×3, first 2 shown]
	v_sub_f32_e32 v107, v158, v108
	v_add_f32_e32 v76, v99, v76
	v_add_f32_e32 v99, v102, v153
	;; [unrolled: 1-line block ×4, first 2 shown]
	v_mul_f32_e32 v132, 0xbe8c1d8e, v65
	v_mul_f32_e32 v121, 0x3dbcf732, v69
	v_add_f32_e32 v100, v114, v100
	v_add_f32_e32 v102, v115, v140
	;; [unrolled: 1-line block ×3, first 2 shown]
	v_sub_f32_e32 v107, v128, v111
	v_add_f32_e32 v76, v99, v76
	v_add_f32_e32 v104, v104, v130
	;; [unrolled: 1-line block ×4, first 2 shown]
	v_mul_f32_e32 v144, 0x3ee437d1, v70
	v_mul_f32_e32 v110, 0xbf59a7d5, v74
	v_add_f32_e32 v99, v102, v100
	v_add_f32_e32 v100, v107, v106
	v_sub_f32_e32 v102, v121, v109
	v_add_f32_e32 v76, v104, v76
	v_add_f32_e32 v103, v103, v132
	;; [unrolled: 1-line block ×4, first 2 shown]
	v_mul_f32_e32 v179, 0x3f6eb680, v75
	v_add_f32_e32 v100, v102, v100
	v_sub_f32_e32 v102, v110, v112
	v_add_f32_e32 v76, v103, v76
	v_add_f32_e32 v103, v105, v144
	;; [unrolled: 1-line block ×4, first 2 shown]
	v_mul_f32_e32 v184, 0xbf59a7d5, v60
	v_add_f32_e32 v98, v102, v100
	v_add_f32_e32 v76, v103, v76
	;; [unrolled: 1-line block ×4, first 2 shown]
	v_fma_f32 v26, 0xbf7ba420, v47, -v157
	v_mul_f32_e32 v188, 0xbe8c1d8e, v64
	v_add_f32_e32 v71, v96, v71
	v_add_f32_e32 v7, v100, v76
	v_sub_f32_e32 v76, v184, v95
	v_add_f32_e32 v20, v22, v20
	v_add_f32_e32 v21, v23, v21
	v_add_f32_e32 v23, v26, v5
	v_fma_f32 v25, 0x3f6eb680, v49, -v156
	v_mul_f32_e32 v143, 0x3ee437d1, v69
	v_add_f32_e32 v68, v76, v71
	v_sub_f32_e32 v71, v188, v92
	v_add_f32_e32 v16, v16, v20
	v_add_f32_e32 v17, v17, v21
	v_add_f32_e32 v21, v25, v23
	v_fma_f32 v22, 0xbf59a7d5, v51, -v159
	v_mul_f32_e32 v177, 0x3f6eb680, v74
	;; [unrolled: 7-line block ×3, first 2 shown]
	v_mul_f32_e32 v187, 0xbf1a4643, v65
	v_add_f32_e32 v30, v30, v63
	v_sub_f32_e32 v36, v177, v94
	v_add_f32_e32 v8, v8, v16
	v_add_f32_e32 v9, v9, v17
	;; [unrolled: 1-line block ×3, first 2 shown]
	v_fma_f32 v18, 0xbf1a4643, v61, -v162
	v_mul_f32_e32 v186, 0x3f3d2fb0, v48
	v_mul_f32_e32 v133, 0xbf59a7d5, v70
	v_add_f32_e32 v33, v80, v187
	v_add_f32_e32 v6, v36, v30
	v_sub_f32_e32 v30, v173, v56
	v_add_f32_e32 v8, v10, v8
	v_add_f32_e32 v9, v11, v9
	;; [unrolled: 1-line block ×3, first 2 shown]
	v_fma_f32 v16, 0x3ee437d1, v65, -v164
	v_fmac_f32_e32 v154, 0xbf7ba420, v46
	v_mul_f32_e32 v189, 0x3ee437d1, v50
	v_mul_f32_e32 v174, 0xbf7ba420, v75
	v_add_f32_e32 v28, v33, v28
	v_add_f32_e32 v32, v82, v133
	;; [unrolled: 1-line block ×3, first 2 shown]
	v_sub_f32_e32 v31, v186, v59
	v_add_f32_e32 v8, v12, v8
	v_fma_f32 v12, 0xbf59a7d5, v47, -v161
	v_fmac_f32_e32 v163, 0xbf59a7d5, v46
	v_add_f32_e32 v9, v13, v9
	v_add_f32_e32 v10, v16, v11
	v_fma_f32 v11, 0xbe8c1d8e, v70, -v165
	v_add_f32_e32 v13, v154, v4
	v_fmac_f32_e32 v138, 0x3f6eb680, v48
	v_mul_f32_e32 v146, 0x3dbcf732, v57
	v_add_f32_e32 v28, v32, v28
	v_add_f32_e32 v32, v83, v174
	;; [unrolled: 1-line block ×3, first 2 shown]
	v_sub_f32_e32 v30, v189, v62
	v_add_f32_e32 v5, v12, v5
	v_fma_f32 v12, 0x3ee437d1, v49, -v168
	v_add_f32_e32 v4, v163, v4
	v_fmac_f32_e32 v166, 0x3ee437d1, v48
	v_add_f32_e32 v10, v11, v10
	v_add_f32_e32 v11, v138, v13
	v_fmac_f32_e32 v139, 0xbf59a7d5, v50
	v_mul_f32_e32 v134, 0xbe8c1d8e, v60
	v_add_f32_e32 v24, v32, v28
	v_add_f32_e32 v27, v30, v29
	v_sub_f32_e32 v28, v146, v66
	v_add_f32_e32 v5, v12, v5
	v_fma_f32 v12, 0x3dbcf732, v51, -v169
	v_add_f32_e32 v4, v166, v4
	v_fmac_f32_e32 v167, 0x3dbcf732, v50
	v_add_f32_e32 v11, v139, v11
	v_fmac_f32_e32 v141, 0x3f3d2fb0, v57
	v_mul_f32_e32 v137, 0xbf1a4643, v64
	v_add_f32_e32 v26, v28, v27
	v_sub_f32_e32 v27, v134, v72
	v_add_f32_e32 v5, v12, v5
	v_fma_f32 v12, 0xbf1a4643, v58, -v170
	v_add_f32_e32 v4, v167, v4
	v_fmac_f32_e32 v123, 0xbf1a4643, v57
	v_add_f32_e32 v11, v141, v11
	v_fmac_f32_e32 v145, 0xbf1a4643, v60
	v_mul_f32_e32 v122, 0xbf59a7d5, v69
	;; [unrolled: 9-line block ×3, first 2 shown]
	v_add_f32_e32 v21, v25, v23
	v_sub_f32_e32 v22, v122, v79
	v_add_f32_e32 v5, v12, v5
	v_fma_f32 v12, 0xbf7ba420, v65, -v127
	v_add_f32_e32 v4, v124, v4
	v_fmac_f32_e32 v125, 0xbf7ba420, v64
	v_add_f32_e32 v11, v147, v11
	v_fmac_f32_e32 v150, 0xbe8c1d8e, v69
	v_add_f32_e32 v19, v22, v21
	v_sub_f32_e32 v20, v113, v81
	v_add_f32_e32 v5, v12, v5
	v_fma_f32 v12, 0x3f3d2fb0, v70, -v126
	v_add_f32_e32 v4, v125, v4
	v_fmac_f32_e32 v120, 0x3f3d2fb0, v69
	v_and_b32_e32 v16, 0xffff, v91
	v_fma_f32 v192, 0xbe8c1d8e, v74, -v135
	v_fma_f32 v13, 0x3dbcf732, v75, -v151
	v_add_f32_e32 v11, v150, v11
	v_fmac_f32_e32 v155, 0x3dbcf732, v74
	v_add_f32_e32 v23, v20, v19
	v_add_f32_e32 v12, v12, v5
	v_fma_f32 v17, 0xbe8c1d8e, v75, -v129
	v_add_f32_e32 v18, v120, v4
	v_fmac_f32_e32 v135, 0xbe8c1d8e, v74
	v_add_lshl_u32 v16, v89, v16, 3
	v_add_f32_e32 v42, v192, v202
	v_add_f32_e32 v5, v13, v10
	;; [unrolled: 1-line block ×5, first 2 shown]
	ds_write2_b64 v16, v[8:9], v[23:24] offset1:1
	ds_write2_b64 v16, v[6:7], v[98:99] offset0:2 offset1:3
	ds_write2_b64 v16, v[118:119], v[148:149] offset0:4 offset1:5
	;; [unrolled: 1-line block ×7, first 2 shown]
	ds_write_b64 v16, v[85:86] offset:128
.LBB0_7:
	s_or_b32 exec_lo, exec_lo, s4
	v_and_b32_e32 v4, 0xff, v88
	v_mov_b32_e32 v5, 10
	s_load_dwordx4 s[4:7], s[0:1], 0x0
	s_waitcnt lgkmcnt(0)
	s_barrier
	v_mul_lo_u16 v4, 0xf1, v4
	buffer_gl0_inv
	v_add_lshl_u32 v92, v89, v88, 3
	v_mov_b32_e32 v11, 0xbb
	v_cmp_gt_u16_e64 s0, 17, v88
	v_lshrrev_b16 v9, 12, v4
	v_add_nc_u32_e32 v8, 0x800, v92
	v_add_nc_u32_e32 v12, 0xc00, v92
	;; [unrolled: 1-line block ×3, first 2 shown]
	v_mul_lo_u16 v4, v9, 17
	v_mul_u32_u24_sdwa v11, v9, v11 dst_sel:DWORD dst_unused:UNUSED_PAD src0_sel:WORD_0 src1_sel:DWORD
	v_add_nc_u32_e32 v9, 0x1000, v92
	v_sub_nc_u16 v10, v88, v4
	v_mul_u32_u24_sdwa v4, v10, v5 dst_sel:DWORD dst_unused:UNUSED_PAD src0_sel:BYTE_0 src1_sel:DWORD
	v_add_nc_u32_sdwa v13, v11, v10 dst_sel:DWORD dst_unused:UNUSED_PAD src0_sel:DWORD src1_sel:BYTE_0
	v_add_nc_u32_e32 v10, 0x400, v92
	v_lshlrev_b32_e32 v4, 3, v4
	v_add_lshl_u32 v93, v89, v13, 3
	s_clause 0x4
	global_load_dwordx4 v[32:35], v4, s[2:3]
	global_load_dwordx4 v[28:31], v4, s[2:3] offset:16
	global_load_dwordx4 v[20:23], v4, s[2:3] offset:32
	;; [unrolled: 1-line block ×4, first 2 shown]
	ds_read2_b64 v[4:7], v92 offset1:85
	ds_read2_b64 v[36:39], v92 offset0:170 offset1:255
	ds_read2_b64 v[40:43], v8 offset0:84 offset1:169
	;; [unrolled: 1-line block ×3, first 2 shown]
	ds_read_b64 v[11:12], v92 offset:6800
	ds_read2_b64 v[48:51], v9 offset0:168 offset1:253
	s_waitcnt vmcnt(0) lgkmcnt(0)
	s_barrier
	buffer_gl0_inv
	v_mul_f32_e32 v13, v7, v33
	v_mul_f32_e32 v56, v6, v33
	;; [unrolled: 1-line block ×10, first 2 shown]
	v_fma_f32 v6, v6, v32, -v13
	v_fmac_f32_e32 v56, v7, v32
	v_mul_f32_e32 v59, v39, v29
	v_mul_f32_e32 v61, v38, v29
	;; [unrolled: 1-line block ×10, first 2 shown]
	v_fma_f32 v7, v36, v34, -v57
	v_fmac_f32_e32 v58, v37, v34
	v_fma_f32 v36, v40, v30, -v62
	v_fmac_f32_e32 v63, v41, v30
	v_fma_f32 v40, v48, v18, -v70
	v_fma_f32 v48, v50, v24, -v72
	;; [unrolled: 1-line block ×3, first 2 shown]
	v_fmac_f32_e32 v75, v12, v26
	v_add_f32_e32 v12, v4, v6
	v_add_f32_e32 v41, v5, v56
	v_fma_f32 v13, v38, v28, -v59
	v_fmac_f32_e32 v61, v39, v28
	v_fma_f32 v37, v42, v20, -v64
	v_fmac_f32_e32 v65, v43, v20
	;; [unrolled: 2-line block ×4, first 2 shown]
	v_fmac_f32_e32 v71, v49, v18
	v_fmac_f32_e32 v73, v51, v24
	v_add_f32_e32 v42, v6, v11
	v_sub_f32_e32 v6, v6, v11
	v_sub_f32_e32 v44, v56, v75
	v_add_f32_e32 v45, v7, v48
	v_sub_f32_e32 v47, v7, v48
	v_add_f32_e32 v7, v12, v7
	v_add_f32_e32 v12, v41, v58
	;; [unrolled: 1-line block ×4, first 2 shown]
	v_sub_f32_e32 v49, v58, v73
	v_sub_f32_e32 v56, v13, v40
	;; [unrolled: 1-line block ×7, first 2 shown]
	v_mul_f32_e32 v41, 0xbf0a6770, v44
	v_mul_f32_e32 v58, 0xbf0a6770, v6
	;; [unrolled: 1-line block ×9, first 2 shown]
	v_add_f32_e32 v7, v7, v13
	v_add_f32_e32 v12, v12, v61
	v_mul_f32_e32 v44, 0xbe903f40, v44
	v_add_f32_e32 v50, v13, v40
	v_add_f32_e32 v51, v61, v71
	;; [unrolled: 1-line block ×6, first 2 shown]
	v_mul_f32_e32 v82, 0xbf68dda4, v49
	v_mul_f32_e32 v83, 0xbf68dda4, v47
	;; [unrolled: 1-line block ×40, first 2 shown]
	v_fma_f32 v13, 0x3f575c64, v42, -v41
	v_fmamk_f32 v61, v43, 0x3f575c64, v58
	v_fmac_f32_e32 v41, 0x3f575c64, v42
	v_fma_f32 v58, 0x3f575c64, v43, -v58
	v_fma_f32 v124, 0x3ed4b147, v42, -v76
	v_fmamk_f32 v125, v43, 0x3ed4b147, v77
	v_fmac_f32_e32 v76, 0x3ed4b147, v42
	v_fma_f32 v77, 0x3ed4b147, v43, -v77
	;; [unrolled: 4-line block ×4, first 2 shown]
	v_fmamk_f32 v131, v43, 0xbf75a155, v6
	v_fma_f32 v6, 0xbf75a155, v43, -v6
	v_add_f32_e32 v7, v7, v36
	v_add_f32_e32 v12, v12, v63
	v_fma_f32 v130, 0xbf75a155, v42, -v44
	v_fmac_f32_e32 v44, 0xbf75a155, v42
	v_fma_f32 v42, 0x3ed4b147, v45, -v82
	v_fmamk_f32 v43, v46, 0x3ed4b147, v83
	v_fmac_f32_e32 v82, 0x3ed4b147, v45
	v_fma_f32 v83, 0x3ed4b147, v46, -v83
	v_fma_f32 v132, 0xbf27a4f4, v45, -v94
	v_fmamk_f32 v133, v46, 0xbf27a4f4, v95
	v_fmac_f32_e32 v94, 0xbf27a4f4, v45
	v_fma_f32 v95, 0xbf27a4f4, v46, -v95
	v_fma_f32 v134, 0xbf75a155, v45, -v96
	v_fmamk_f32 v135, v46, 0xbf75a155, v97
	v_fmac_f32_e32 v96, 0xbf75a155, v45
	v_fma_f32 v97, 0xbf75a155, v46, -v97
	v_fma_f32 v136, 0xbe11bafb, v45, -v98
	v_fmamk_f32 v137, v46, 0xbe11bafb, v99
	v_fmac_f32_e32 v98, 0xbe11bafb, v45
	v_fma_f32 v99, 0xbe11bafb, v46, -v99
	v_fma_f32 v138, 0x3f575c64, v45, -v49
	v_fmamk_f32 v139, v46, 0x3f575c64, v47
	v_fmac_f32_e32 v49, 0x3f575c64, v45
	v_fma_f32 v45, 0x3f575c64, v46, -v47
	v_fma_f32 v46, 0xbe11bafb, v50, -v100
	v_fmamk_f32 v47, v51, 0xbe11bafb, v101
	v_fmac_f32_e32 v100, 0xbe11bafb, v50
	v_fma_f32 v101, 0xbe11bafb, v51, -v101
	v_fma_f32 v140, 0xbf75a155, v50, -v102
	v_fmamk_f32 v141, v51, 0xbf75a155, v103
	v_fmac_f32_e32 v102, 0xbf75a155, v50
	v_fma_f32 v103, 0xbf75a155, v51, -v103
	v_fma_f32 v142, 0x3ed4b147, v50, -v104
	v_fmamk_f32 v143, v51, 0x3ed4b147, v105
	v_fmac_f32_e32 v104, 0x3ed4b147, v50
	v_fma_f32 v105, 0x3ed4b147, v51, -v105
	v_fma_f32 v144, 0x3f575c64, v50, -v106
	v_fmamk_f32 v145, v51, 0x3f575c64, v107
	v_fmac_f32_e32 v106, 0x3f575c64, v50
	v_fma_f32 v107, 0x3f575c64, v51, -v107
	v_fma_f32 v146, 0xbf27a4f4, v50, -v57
	v_fmamk_f32 v147, v51, 0xbf27a4f4, v56
	v_fmac_f32_e32 v57, 0xbf27a4f4, v50
	v_fma_f32 v50, 0xbf27a4f4, v51, -v56
	v_fma_f32 v51, 0xbf27a4f4, v59, -v108
	v_fmamk_f32 v56, v62, 0xbf27a4f4, v109
	v_fmac_f32_e32 v108, 0xbf27a4f4, v59
	v_fma_f32 v109, 0xbf27a4f4, v62, -v109
	v_fma_f32 v148, 0xbe11bafb, v59, -v110
	v_fmamk_f32 v149, v62, 0xbe11bafb, v111
	v_fmac_f32_e32 v110, 0xbe11bafb, v59
	v_fma_f32 v111, 0xbe11bafb, v62, -v111
	v_fma_f32 v150, 0x3f575c64, v59, -v112
	v_fmamk_f32 v151, v62, 0x3f575c64, v113
	v_fmac_f32_e32 v112, 0x3f575c64, v59
	v_fma_f32 v113, 0x3f575c64, v62, -v113
	v_fma_f32 v152, 0xbf75a155, v59, -v114
	v_fmamk_f32 v153, v62, 0xbf75a155, v115
	v_fmac_f32_e32 v114, 0xbf75a155, v59
	v_fma_f32 v115, 0xbf75a155, v62, -v115
	v_fma_f32 v154, 0x3ed4b147, v59, -v66
	v_fmamk_f32 v155, v62, 0x3ed4b147, v64
	v_fmac_f32_e32 v66, 0x3ed4b147, v59
	v_fma_f32 v59, 0x3ed4b147, v62, -v64
	v_fma_f32 v62, 0xbf75a155, v68, -v116
	v_fmamk_f32 v64, v70, 0xbf75a155, v117
	v_fmac_f32_e32 v116, 0xbf75a155, v68
	v_fma_f32 v117, 0xbf75a155, v70, -v117
	v_fma_f32 v156, 0x3f575c64, v68, -v118
	v_fmamk_f32 v157, v70, 0x3f575c64, v119
	v_fmac_f32_e32 v118, 0x3f575c64, v68
	v_fma_f32 v119, 0x3f575c64, v70, -v119
	v_fma_f32 v158, 0xbf27a4f4, v68, -v120
	v_fmamk_f32 v159, v70, 0xbf27a4f4, v121
	v_fmac_f32_e32 v120, 0xbf27a4f4, v68
	v_fma_f32 v121, 0xbf27a4f4, v70, -v121
	v_fma_f32 v160, 0x3ed4b147, v68, -v122
	v_fmamk_f32 v161, v70, 0x3ed4b147, v123
	v_fmac_f32_e32 v122, 0x3ed4b147, v68
	v_fma_f32 v123, 0x3ed4b147, v70, -v123
	v_fma_f32 v162, 0xbe11bafb, v68, -v74
	v_fmamk_f32 v163, v70, 0xbe11bafb, v72
	v_fmac_f32_e32 v74, 0xbe11bafb, v68
	v_fma_f32 v68, 0xbe11bafb, v70, -v72
	v_add_f32_e32 v13, v4, v13
	v_add_f32_e32 v36, v5, v61
	;; [unrolled: 1-line block ×110, first 2 shown]
	ds_write2_b64 v93, v[6:7], v[38:39] offset0:34 offset1:51
	v_add_f32_e32 v6, v50, v11
	v_add_f32_e32 v7, v51, v75
	ds_write2_b64 v93, v[42:43], v[46:47] offset0:68 offset1:85
	ds_write2_b64 v93, v[48:49], v[44:45] offset0:102 offset1:119
	;; [unrolled: 1-line block ×3, first 2 shown]
	ds_write_b64 v93, v[12:13] offset:1360
	ds_write2_b64 v93, v[6:7], v[4:5] offset1:17
	s_waitcnt lgkmcnt(0)
	s_barrier
	buffer_gl0_inv
	ds_read2_b64 v[56:59], v92 offset1:85
	ds_read2_b64 v[72:75], v10 offset0:59 offset1:144
	ds_read2_b64 v[68:71], v8 offset0:118 offset1:203
	ds_read2_b64 v[64:67], v9 offset0:49 offset1:134
	ds_read2_b64 v[60:63], v60 offset0:108 offset1:193
	s_and_saveexec_b32 s1, s0
	s_cbranch_execz .LBB0_9
; %bb.8:
	ds_read2_b64 v[12:15], v10 offset0:42 offset1:229
	ds_read2_b64 v[52:55], v9 offset0:32 offset1:219
	ds_read_b64 v[0:1], v92 offset:7344
.LBB0_9:
	s_or_b32 exec_lo, exec_lo, s1
	v_lshlrev_b32_e32 v4, 5, v88
	v_lshl_add_u32 v94, v88, 3, v90
	v_add_nc_u32_e32 v95, v87, v90
	s_clause 0x1
	global_load_dwordx4 v[44:47], v4, s[2:3] offset:1360
	global_load_dwordx4 v[40:43], v4, s[2:3] offset:1376
	v_add_nc_u32_e32 v4, 0xaa0, v4
	v_add_nc_u32_e32 v96, 0x400, v94
	;; [unrolled: 1-line block ×4, first 2 shown]
	s_clause 0x1
	global_load_dwordx4 v[48:51], v4, s[2:3] offset:1360
	global_load_dwordx4 v[36:39], v4, s[2:3] offset:1376
	v_add_co_u32 v4, s1, 0xaa, v88
	v_add_co_ci_u32_e64 v5, null, 0, 0, s1
	v_add_co_u32 v6, s1, 0xffffffef, v88
	v_add_co_ci_u32_e64 v7, null, 0, -1, s1
	v_add_nc_u32_e32 v99, 0x1400, v95
	v_cndmask_b32_e64 v4, v6, v4, s0
	v_cndmask_b32_e64 v5, v7, v5, s0
	v_lshlrev_b64 v[4:5], 5, v[4:5]
	v_add_co_u32 v4, s1, s2, v4
	v_add_co_ci_u32_e64 v5, s1, s3, v5, s1
	s_clause 0x1
	global_load_dwordx4 v[8:11], v[4:5], off offset:1360
	global_load_dwordx4 v[4:7], v[4:5], off offset:1376
	s_waitcnt vmcnt(5) lgkmcnt(3)
	v_mul_f32_e32 v76, v73, v45
	v_mul_f32_e32 v77, v72, v45
	s_waitcnt lgkmcnt(2)
	v_mul_f32_e32 v78, v69, v47
	v_mul_f32_e32 v79, v68, v47
	s_waitcnt vmcnt(4) lgkmcnt(1)
	v_mul_f32_e32 v80, v65, v41
	v_mul_f32_e32 v81, v64, v41
	s_waitcnt lgkmcnt(0)
	v_mul_f32_e32 v82, v61, v43
	v_mul_f32_e32 v83, v60, v43
	v_fma_f32 v72, v72, v44, -v76
	v_fmac_f32_e32 v77, v73, v44
	v_fma_f32 v68, v68, v46, -v78
	v_fmac_f32_e32 v79, v69, v46
	;; [unrolled: 2-line block ×4, first 2 shown]
	s_waitcnt vmcnt(3)
	v_mul_f32_e32 v61, v75, v49
	v_mul_f32_e32 v65, v74, v49
	v_mul_f32_e32 v69, v71, v51
	v_mul_f32_e32 v73, v70, v51
	s_waitcnt vmcnt(2)
	v_mul_f32_e32 v76, v67, v37
	v_mul_f32_e32 v80, v66, v37
	;; [unrolled: 1-line block ×4, first 2 shown]
	v_fma_f32 v61, v74, v48, -v61
	v_fmac_f32_e32 v65, v75, v48
	v_fma_f32 v70, v70, v50, -v69
	v_fmac_f32_e32 v73, v71, v50
	;; [unrolled: 2-line block ×3, first 2 shown]
	v_sub_f32_e32 v66, v72, v68
	v_sub_f32_e32 v67, v60, v64
	v_add_f32_e32 v69, v72, v60
	v_add_f32_e32 v102, v79, v81
	;; [unrolled: 1-line block ×3, first 2 shown]
	v_fma_f32 v74, v62, v38, -v78
	v_fmac_f32_e32 v82, v63, v38
	v_add_f32_e32 v62, v56, v72
	v_add_f32_e32 v63, v68, v64
	v_sub_f32_e32 v75, v77, v83
	v_sub_f32_e32 v78, v68, v72
	;; [unrolled: 1-line block ×3, first 2 shown]
	v_add_f32_e32 v101, v57, v77
	v_sub_f32_e32 v103, v68, v64
	v_sub_f32_e32 v104, v77, v79
	;; [unrolled: 1-line block ×5, first 2 shown]
	v_add_f32_e32 v108, v66, v67
	v_fma_f32 v66, -0.5, v69, v56
	v_fma_f32 v69, -0.5, v102, v57
	;; [unrolled: 1-line block ×3, first 2 shown]
	v_add_f32_e32 v57, v58, v61
	v_add_f32_e32 v110, v59, v65
	s_waitcnt vmcnt(1)
	v_mul_f32_e32 v118, v15, v9
	v_mul_f32_e32 v119, v14, v9
	;; [unrolled: 1-line block ×4, first 2 shown]
	s_waitcnt vmcnt(0)
	v_mul_f32_e32 v122, v55, v5
	v_mul_f32_e32 v123, v54, v5
	;; [unrolled: 1-line block ×4, first 2 shown]
	v_sub_f32_e32 v76, v79, v81
	v_sub_f32_e32 v72, v72, v60
	v_add_f32_e32 v62, v62, v68
	v_fma_f32 v68, -0.5, v63, v56
	v_add_f32_e32 v100, v78, v100
	v_add_f32_e32 v56, v101, v79
	;; [unrolled: 1-line block ×5, first 2 shown]
	v_sub_f32_e32 v104, v65, v82
	v_sub_f32_e32 v105, v73, v80
	;; [unrolled: 1-line block ×3, first 2 shown]
	v_add_f32_e32 v106, v61, v74
	v_sub_f32_e32 v107, v70, v61
	v_sub_f32_e32 v109, v71, v74
	v_add_f32_e32 v111, v73, v80
	v_sub_f32_e32 v112, v61, v74
	v_sub_f32_e32 v113, v70, v71
	v_sub_f32_e32 v61, v65, v73
	v_add_f32_e32 v115, v65, v82
	v_sub_f32_e32 v116, v73, v65
	v_sub_f32_e32 v117, v80, v82
	v_fmamk_f32 v65, v103, 0x3f737871, v67
	v_fmac_f32_e32 v67, 0xbf737871, v103
	v_add_f32_e32 v70, v57, v70
	v_add_f32_e32 v73, v110, v73
	v_fma_f32 v14, v14, v8, -v118
	v_fmac_f32_e32 v119, v15, v8
	v_fma_f32 v15, v52, v10, -v120
	v_fmac_f32_e32 v121, v53, v10
	;; [unrolled: 2-line block ×4, first 2 shown]
	v_sub_f32_e32 v114, v82, v80
	v_add_f32_e32 v126, v62, v64
	v_fmamk_f32 v64, v76, 0xbf737871, v66
	v_fmac_f32_e32 v66, 0x3f737871, v76
	v_add_f32_e32 v81, v56, v81
	v_fmamk_f32 v63, v72, 0xbf737871, v69
	v_fmac_f32_e32 v69, 0x3f737871, v72
	v_fma_f32 v56, -0.5, v77, v58
	v_fma_f32 v58, -0.5, v106, v58
	v_add_f32_e32 v106, v107, v109
	v_fma_f32 v57, -0.5, v111, v59
	v_add_f32_e32 v109, v116, v117
	v_fmac_f32_e32 v65, 0xbf167918, v72
	v_fmac_f32_e32 v67, 0x3f167918, v72
	v_add_f32_e32 v0, v70, v71
	v_add_f32_e32 v1, v73, v80
	;; [unrolled: 1-line block ×4, first 2 shown]
	v_sub_f32_e32 v72, v14, v15
	v_sub_f32_e32 v73, v53, v52
	v_add_f32_e32 v80, v14, v53
	v_add_f32_e32 v110, v13, v119
	;; [unrolled: 1-line block ×4, first 2 shown]
	v_sub_f32_e32 v79, v74, v71
	v_fmamk_f32 v62, v75, 0x3f737871, v68
	v_fmac_f32_e32 v68, 0xbf737871, v75
	v_add_f32_e32 v107, v61, v114
	v_fmac_f32_e32 v59, -0.5, v115
	v_fmac_f32_e32 v64, 0x3f167918, v75
	v_fmac_f32_e32 v66, 0xbf167918, v75
	v_add_f32_e32 v61, v81, v83
	v_fmac_f32_e32 v63, 0xbf167918, v103
	v_fmac_f32_e32 v69, 0x3f167918, v103
	v_sub_f32_e32 v75, v119, v125
	v_sub_f32_e32 v81, v121, v123
	;; [unrolled: 1-line block ×6, first 2 shown]
	v_add_f32_e32 v70, v0, v74
	v_add_f32_e32 v71, v1, v82
	;; [unrolled: 1-line block ×3, first 2 shown]
	v_fma_f32 v0, -0.5, v55, v12
	v_add_f32_e32 v54, v72, v73
	v_fmac_f32_e32 v12, -0.5, v80
	v_add_f32_e32 v73, v110, v121
	v_fma_f32 v1, -0.5, v111, v13
	v_fmac_f32_e32 v13, -0.5, v117
	v_add_f32_e32 v127, v78, v79
	v_fmac_f32_e32 v62, 0x3f167918, v76
	v_fmac_f32_e32 v68, 0xbf167918, v76
	v_fmamk_f32 v76, v104, 0x3f737871, v56
	v_fmac_f32_e32 v56, 0xbf737871, v104
	v_fmamk_f32 v78, v105, 0xbf737871, v58
	;; [unrolled: 2-line block ×4, first 2 shown]
	v_fmac_f32_e32 v59, 0xbf737871, v113
	v_sub_f32_e32 v115, v119, v121
	v_sub_f32_e32 v116, v125, v123
	v_sub_f32_e32 v118, v121, v119
	v_sub_f32_e32 v119, v123, v125
	v_add_f32_e32 v55, v83, v103
	v_add_f32_e32 v15, v15, v52
	v_fmamk_f32 v82, v75, 0x3f737871, v0
	v_fmac_f32_e32 v0, 0xbf737871, v75
	v_fmamk_f32 v72, v81, 0xbf737871, v12
	v_fmac_f32_e32 v12, 0x3f737871, v81
	v_add_f32_e32 v52, v73, v123
	v_fmamk_f32 v83, v14, 0xbf737871, v1
	v_fmac_f32_e32 v1, 0x3f737871, v14
	v_fmamk_f32 v73, v114, 0x3f737871, v13
	v_fmac_f32_e32 v13, 0xbf737871, v114
	v_fmac_f32_e32 v64, 0x3e9e377a, v100
	;; [unrolled: 1-line block ×11, first 2 shown]
	v_add_f32_e32 v74, v115, v116
	v_add_f32_e32 v100, v118, v119
	v_fmac_f32_e32 v82, 0x3f167918, v81
	v_fmac_f32_e32 v0, 0xbf167918, v81
	;; [unrolled: 1-line block ×8, first 2 shown]
	v_add_f32_e32 v60, v126, v60
	v_fmac_f32_e32 v62, 0x3e9e377a, v108
	v_fmac_f32_e32 v68, 0x3e9e377a, v108
	;; [unrolled: 1-line block ×14, first 2 shown]
	v_add_f32_e32 v80, v15, v53
	v_add_f32_e32 v81, v52, v125
	v_fmac_f32_e32 v82, 0x3e9e377a, v54
	v_fmac_f32_e32 v0, 0x3e9e377a, v54
	;; [unrolled: 1-line block ×8, first 2 shown]
	ds_write2_b64 v96, v[62:63], v[64:65] offset0:59 offset1:246
	ds_write2_b64 v97, v[66:67], v[68:69] offset0:49 offset1:236
	ds_write2_b64 v94, v[60:61], v[70:71] offset1:85
	ds_write2_b64 v98, v[76:77], v[78:79] offset0:16 offset1:203
	ds_write2_b64 v99, v[58:59], v[56:57] offset0:6 offset1:193
	s_and_saveexec_b32 s1, s0
	s_cbranch_execz .LBB0_11
; %bb.10:
	v_add_nc_u32_e32 v14, 0x400, v94
	v_add_nc_u32_e32 v15, 0x1000, v94
	ds_write2_b64 v14, v[80:81], v[82:83] offset0:42 offset1:229
	ds_write2_b64 v15, v[72:73], v[12:13] offset0:32 offset1:219
	ds_write_b64 v94, v[0:1] offset:7344
.LBB0_11:
	s_or_b32 exec_lo, exec_lo, s1
	s_waitcnt lgkmcnt(0)
	s_barrier
	buffer_gl0_inv
	s_and_saveexec_b32 s2, vcc_lo
	s_cbranch_execz .LBB0_13
; %bb.12:
	v_add_co_u32 v98, s1, s12, v87
	v_add_co_ci_u32_e64 v99, null, s13, 0, s1
	v_add_nc_u32_e32 v158, 0x400, v94
	v_add_co_u32 v14, s1, 0x1800, v98
	v_add_co_ci_u32_e64 v15, s1, 0, v99, s1
	v_add_co_u32 v52, s1, 0x1d38, v98
	v_add_co_ci_u32_e64 v53, s1, 0, v99, s1
	;; [unrolled: 2-line block ×4, first 2 shown]
	s_clause 0x7
	global_load_dwordx2 v[14:15], v[14:15], off offset:1336
	global_load_dwordx2 v[74:75], v[52:53], off offset:440
	;; [unrolled: 1-line block ×8, first 2 shown]
	v_add_co_u32 v52, s1, 0x3000, v98
	v_add_co_ci_u32_e64 v53, s1, 0, v99, s1
	v_add_co_u32 v54, s1, 0x3800, v98
	v_add_co_ci_u32_e64 v55, s1, 0, v99, s1
	s_clause 0x8
	global_load_dwordx2 v[136:137], v[96:97], off offset:760
	global_load_dwordx2 v[138:139], v[96:97], off offset:1200
	;; [unrolled: 1-line block ×9, first 2 shown]
	v_add_nc_u32_e32 v159, 0x800, v94
	ds_read2_b64 v[52:55], v94 offset1:55
	ds_read2_b64 v[96:99], v94 offset0:110 offset1:165
	ds_read2_b64 v[100:103], v158 offset0:92 offset1:147
	v_add_nc_u32_e32 v160, 0x1000, v94
	ds_read2_b64 v[104:107], v159 offset0:74 offset1:129
	v_add_nc_u32_e32 v161, 0x1800, v94
	ds_read_b64 v[154:155], v94 offset:7040
	ds_read2_b64 v[108:111], v159 offset0:184 offset1:239
	ds_read2_b64 v[112:115], v160 offset0:38 offset1:93
	;; [unrolled: 1-line block ×4, first 2 shown]
	s_waitcnt vmcnt(13) lgkmcnt(7)
	v_mul_f32_e32 v164, v99, v127
	v_mul_f32_e32 v156, v53, v15
	;; [unrolled: 1-line block ×8, first 2 shown]
	s_waitcnt vmcnt(12) lgkmcnt(6)
	v_mul_f32_e32 v165, v101, v129
	v_mul_f32_e32 v127, v100, v129
	s_waitcnt vmcnt(11)
	v_mul_f32_e32 v166, v103, v131
	v_mul_f32_e32 v129, v102, v131
	s_waitcnt vmcnt(10) lgkmcnt(5)
	v_mul_f32_e32 v167, v105, v133
	v_mul_f32_e32 v131, v104, v133
	s_waitcnt vmcnt(9)
	v_mul_f32_e32 v168, v107, v135
	v_mul_f32_e32 v133, v106, v135
	;; [unrolled: 6-line block ×6, first 2 shown]
	s_waitcnt vmcnt(0)
	v_mul_f32_e32 v177, v155, v153
	v_mul_f32_e32 v151, v154, v153
	v_fma_f32 v156, v52, v14, -v156
	v_fmac_f32_e32 v157, v53, v14
	v_fma_f32 v14, v54, v74, -v162
	v_fmac_f32_e32 v15, v55, v74
	v_fma_f32 v74, v96, v124, -v163
	v_fmac_f32_e32 v75, v97, v124
	v_fma_f32 v124, v98, v126, -v164
	v_fmac_f32_e32 v125, v99, v126
	v_fma_f32 v126, v100, v128, -v165
	v_fmac_f32_e32 v127, v101, v128
	v_fma_f32 v128, v102, v130, -v166
	v_fmac_f32_e32 v129, v103, v130
	v_fma_f32 v130, v104, v132, -v167
	v_fmac_f32_e32 v131, v105, v132
	v_fma_f32 v132, v106, v134, -v168
	v_fmac_f32_e32 v133, v107, v134
	v_fma_f32 v134, v108, v136, -v169
	v_fmac_f32_e32 v135, v109, v136
	v_fma_f32 v136, v110, v138, -v170
	v_fmac_f32_e32 v137, v111, v138
	v_fma_f32 v138, v112, v140, -v171
	v_fmac_f32_e32 v139, v113, v140
	v_fma_f32 v140, v114, v142, -v172
	v_fmac_f32_e32 v141, v115, v142
	v_fma_f32 v142, v116, v144, -v173
	v_fmac_f32_e32 v143, v117, v144
	v_fma_f32 v144, v118, v146, -v174
	v_fmac_f32_e32 v145, v119, v146
	v_fma_f32 v146, v120, v148, -v175
	v_fmac_f32_e32 v147, v121, v148
	v_fma_f32 v148, v122, v150, -v176
	v_fmac_f32_e32 v149, v123, v150
	v_fma_f32 v150, v154, v152, -v177
	v_fmac_f32_e32 v151, v155, v152
	ds_write2_b64 v94, v[156:157], v[14:15] offset1:55
	ds_write2_b64 v94, v[74:75], v[124:125] offset0:110 offset1:165
	ds_write2_b64 v158, v[126:127], v[128:129] offset0:92 offset1:147
	;; [unrolled: 1-line block ×7, first 2 shown]
	ds_write_b64 v94, v[150:151] offset:7040
.LBB0_13:
	s_or_b32 exec_lo, exec_lo, s2
	s_waitcnt lgkmcnt(0)
	s_barrier
	buffer_gl0_inv
	s_and_saveexec_b32 s1, vcc_lo
	s_cbranch_execz .LBB0_15
; %bb.14:
	v_add_nc_u32_e32 v0, 0x1000, v94
	v_add_nc_u32_e32 v1, 0x800, v94
	;; [unrolled: 1-line block ×3, first 2 shown]
	ds_read2_b64 v[60:63], v94 offset1:55
	v_add_nc_u32_e32 v3, 0x1800, v94
	ds_read2_b64 v[72:75], v0 offset0:148 offset1:203
	ds_read2_b64 v[64:67], v94 offset0:110 offset1:165
	;; [unrolled: 1-line block ×3, first 2 shown]
	ds_read_b64 v[85:86], v94 offset:7040
	ds_read2_b64 v[68:71], v2 offset0:92 offset1:147
	ds_read2_b64 v[76:79], v1 offset0:74 offset1:129
	;; [unrolled: 1-line block ×4, first 2 shown]
	s_waitcnt lgkmcnt(7)
	v_mov_b32_e32 v12, v74
	v_mov_b32_e32 v13, v75
	s_waitcnt lgkmcnt(5)
	v_mov_b32_e32 v58, v54
	v_mov_b32_e32 v59, v55
.LBB0_15:
	s_or_b32 exec_lo, exec_lo, s1
	s_waitcnt lgkmcnt(4)
	v_sub_f32_e32 v158, v63, v86
	v_add_f32_e32 v180, v86, v63
	v_add_f32_e32 v151, v85, v62
	s_waitcnt lgkmcnt(0)
	v_sub_f32_e32 v102, v65, v3
	v_sub_f32_e32 v160, v62, v85
	v_mul_f32_e32 v181, 0xbf65296c, v158
	v_mul_f32_e32 v183, 0x3ee437d1, v180
	;; [unrolled: 1-line block ×3, first 2 shown]
	v_add_f32_e32 v103, v3, v65
	v_add_f32_e32 v96, v2, v64
	v_fma_f32 v14, 0x3ee437d1, v151, -v181
	v_mul_f32_e32 v111, 0xbf4c4adb, v102
	v_mul_f32_e32 v184, 0xbf7ee86f, v158
	;; [unrolled: 1-line block ×3, first 2 shown]
	v_fmamk_f32 v15, v160, 0xbf65296c, v183
	v_fmamk_f32 v53, v160, 0xbf7ee86f, v185
	v_add_f32_e32 v14, v60, v14
	v_mul_f32_e32 v190, 0xbf4c4adb, v158
	v_sub_f32_e32 v97, v64, v2
	v_mul_f32_e32 v113, 0xbf1a4643, v103
	v_fma_f32 v98, 0xbf1a4643, v96, -v111
	v_mul_f32_e32 v123, 0xbf7ba420, v103
	v_mul_f32_e32 v188, 0xbe8c1d8e, v180
	v_fma_f32 v52, 0x3dbcf732, v151, -v184
	v_fma_f32 v54, 0xbe8c1d8e, v151, -v187
	v_add_f32_e32 v15, v61, v15
	v_add_f32_e32 v53, v61, v53
	v_mul_f32_e32 v191, 0xbf1a4643, v180
	v_fma_f32 v74, 0xbf1a4643, v151, -v190
	v_mul_f32_e32 v121, 0xbe3c28d5, v102
	v_fmamk_f32 v99, v97, 0xbf4c4adb, v113
	v_add_f32_e32 v14, v98, v14
	v_mul_f32_e32 v130, 0x3f06c442, v102
	v_fmamk_f32 v98, v97, 0xbe3c28d5, v123
	v_mul_f32_e32 v139, 0x3f763a35, v102
	v_fmamk_f32 v55, v160, 0xbf763a35, v188
	v_add_f32_e32 v52, v60, v52
	v_add_f32_e32 v54, v60, v54
	v_fmamk_f32 v75, v160, 0xbf4c4adb, v191
	v_add_f32_e32 v74, v60, v74
	v_fma_f32 v100, 0xbf7ba420, v96, -v121
	v_add_f32_e32 v15, v99, v15
	v_mul_f32_e32 v131, 0xbf59a7d5, v103
	v_fma_f32 v99, 0xbf59a7d5, v96, -v130
	v_mul_f32_e32 v143, 0xbe8c1d8e, v103
	v_add_f32_e32 v53, v98, v53
	v_fma_f32 v98, 0xbe8c1d8e, v96, -v139
	v_sub_f32_e32 v106, v67, v1
	v_add_f32_e32 v55, v61, v55
	v_add_f32_e32 v75, v61, v75
	;; [unrolled: 1-line block ×3, first 2 shown]
	v_fmamk_f32 v100, v97, 0x3f06c442, v131
	v_add_f32_e32 v54, v99, v54
	v_fmamk_f32 v99, v97, 0x3f763a35, v143
	v_add_f32_e32 v74, v98, v74
	v_add_f32_e32 v109, v1, v67
	;; [unrolled: 1-line block ×3, first 2 shown]
	v_mul_f32_e32 v119, 0x3e3c28d5, v106
	v_add_f32_e32 v55, v100, v55
	v_add_f32_e32 v75, v99, v75
	v_sub_f32_e32 v99, v66, v0
	v_mul_f32_e32 v122, 0xbf7ba420, v109
	v_fma_f32 v100, 0xbf7ba420, v98, -v119
	v_mul_f32_e32 v137, 0x3f2c7751, v106
	v_mul_f32_e32 v126, 0x3f763a35, v106
	;; [unrolled: 1-line block ×3, first 2 shown]
	v_fmamk_f32 v101, v99, 0x3e3c28d5, v122
	v_add_f32_e32 v14, v100, v14
	v_fma_f32 v100, 0x3f3d2fb0, v98, -v137
	v_mul_f32_e32 v142, 0x3f3d2fb0, v109
	v_sub_f32_e32 v110, v69, v13
	v_fma_f32 v104, 0xbe8c1d8e, v98, -v126
	v_fmamk_f32 v105, v99, 0x3f763a35, v129
	v_add_f32_e32 v15, v101, v15
	v_add_f32_e32 v54, v100, v54
	v_mul_f32_e32 v152, 0xbeb8f4ab, v106
	v_mul_f32_e32 v154, 0x3f6eb680, v109
	v_fmamk_f32 v101, v99, 0x3f2c7751, v142
	v_add_f32_e32 v100, v12, v68
	v_mul_f32_e32 v125, 0x3f763a35, v110
	v_add_f32_e32 v115, v13, v69
	v_add_f32_e32 v52, v104, v52
	;; [unrolled: 1-line block ×3, first 2 shown]
	v_fma_f32 v104, 0x3f6eb680, v98, -v152
	v_fmamk_f32 v105, v99, 0xbeb8f4ab, v154
	v_add_f32_e32 v55, v101, v55
	v_fma_f32 v107, 0xbe8c1d8e, v100, -v125
	v_sub_f32_e32 v101, v68, v12
	v_mul_f32_e32 v128, 0xbe8c1d8e, v115
	v_mul_f32_e32 v134, 0x3eb8f4ab, v110
	v_mul_f32_e32 v138, 0x3f6eb680, v115
	v_add_f32_e32 v74, v104, v74
	v_add_f32_e32 v75, v105, v75
	;; [unrolled: 1-line block ×3, first 2 shown]
	v_mul_f32_e32 v147, 0xbf65296c, v110
	v_fmamk_f32 v104, v101, 0x3f763a35, v128
	v_mul_f32_e32 v149, 0x3ee437d1, v115
	v_fma_f32 v105, 0x3f6eb680, v100, -v134
	v_fmamk_f32 v107, v101, 0x3eb8f4ab, v138
	v_mul_f32_e32 v159, 0xbf06c442, v110
	v_add_f32_e32 v120, v73, v71
	v_fma_f32 v108, 0x3ee437d1, v100, -v147
	v_add_f32_e32 v15, v104, v15
	v_fmamk_f32 v104, v101, 0xbf65296c, v149
	v_add_f32_e32 v52, v105, v52
	v_add_f32_e32 v53, v107, v53
	v_sub_f32_e32 v116, v71, v73
	v_mul_f32_e32 v165, 0xbf59a7d5, v115
	v_fma_f32 v107, 0xbf59a7d5, v100, -v159
	v_sub_f32_e32 v105, v70, v72
	v_mul_f32_e32 v135, 0x3f3d2fb0, v120
	v_add_f32_e32 v54, v108, v54
	v_add_f32_e32 v55, v104, v55
	;; [unrolled: 1-line block ×3, first 2 shown]
	v_fmamk_f32 v108, v101, 0xbf06c442, v165
	v_mul_f32_e32 v145, 0xbf65296c, v116
	v_add_f32_e32 v74, v107, v74
	v_fmamk_f32 v107, v105, 0x3f2c7751, v135
	v_mul_f32_e32 v148, 0x3ee437d1, v120
	v_mul_f32_e32 v133, 0x3f2c7751, v116
	v_add_f32_e32 v75, v108, v75
	v_fma_f32 v108, 0x3ee437d1, v104, -v145
	v_add_f32_e32 v15, v107, v15
	v_mul_f32_e32 v157, 0xbe3c28d5, v116
	v_fmamk_f32 v107, v105, 0xbf65296c, v148
	v_mul_f32_e32 v168, 0x3f7ee86f, v116
	v_fma_f32 v112, 0x3f3d2fb0, v104, -v133
	v_add_f32_e32 v52, v108, v52
	v_mul_f32_e32 v161, 0xbf7ba420, v120
	v_fma_f32 v108, 0xbf7ba420, v104, -v157
	v_mul_f32_e32 v170, 0x3dbcf732, v120
	v_add_f32_e32 v53, v107, v53
	v_fma_f32 v107, 0x3dbcf732, v104, -v168
	v_sub_f32_e32 v124, v77, v83
	v_add_f32_e32 v14, v112, v14
	v_fmamk_f32 v112, v105, 0xbe3c28d5, v161
	v_add_f32_e32 v54, v108, v54
	v_fmamk_f32 v108, v105, 0x3f7ee86f, v170
	v_add_f32_e32 v74, v107, v74
	v_add_f32_e32 v127, v83, v77
	;; [unrolled: 1-line block ×3, first 2 shown]
	v_mul_f32_e32 v144, 0xbeb8f4ab, v124
	v_add_f32_e32 v55, v112, v55
	v_add_f32_e32 v75, v108, v75
	v_sub_f32_e32 v108, v76, v82
	v_mul_f32_e32 v146, 0x3f6eb680, v127
	v_fma_f32 v112, 0x3f6eb680, v107, -v144
	v_mul_f32_e32 v166, 0x3f7ee86f, v124
	v_mul_f32_e32 v169, 0x3dbcf732, v127
	v_sub_f32_e32 v132, v79, v81
	v_fmamk_f32 v114, v108, 0xbeb8f4ab, v146
	v_add_f32_e32 v14, v112, v14
	v_fma_f32 v112, 0x3dbcf732, v107, -v166
	v_mul_f32_e32 v153, 0xbf06c442, v124
	v_mul_f32_e32 v156, 0xbf59a7d5, v127
	v_add_f32_e32 v15, v114, v15
	v_fmamk_f32 v114, v108, 0x3f7ee86f, v169
	v_add_f32_e32 v54, v112, v54
	v_add_f32_e32 v112, v80, v78
	v_mul_f32_e32 v150, 0xbf7ee86f, v132
	v_add_f32_e32 v136, v81, v79
	v_fma_f32 v117, 0xbf59a7d5, v107, -v153
	v_fmamk_f32 v118, v108, 0xbf06c442, v156
	v_mul_f32_e32 v175, 0xbf2c7751, v124
	v_mul_f32_e32 v176, 0x3f3d2fb0, v127
	v_add_f32_e32 v55, v114, v55
	v_fma_f32 v140, 0x3dbcf732, v112, -v150
	v_sub_f32_e32 v114, v78, v80
	v_mul_f32_e32 v167, 0xbf1a4643, v136
	v_mul_f32_e32 v172, 0xbeb8f4ab, v132
	v_add_f32_e32 v52, v117, v52
	v_add_f32_e32 v53, v118, v53
	v_fma_f32 v117, 0x3f3d2fb0, v107, -v175
	v_fmamk_f32 v118, v108, 0xbf2c7751, v176
	v_mul_f32_e32 v155, 0x3dbcf732, v136
	v_add_f32_e32 v14, v140, v14
	v_mul_f32_e32 v164, 0x3f4c4adb, v132
	v_mul_f32_e32 v174, 0x3f6eb680, v136
	v_fmamk_f32 v140, v114, 0x3f4c4adb, v167
	v_fma_f32 v141, 0x3f6eb680, v112, -v172
	v_add_f32_e32 v74, v117, v74
	v_add_f32_e32 v75, v118, v75
	v_fmamk_f32 v117, v114, 0xbf7ee86f, v155
	v_fma_f32 v118, 0xbf1a4643, v112, -v164
	v_fmamk_f32 v162, v114, 0xbeb8f4ab, v174
	v_add_f32_e32 v53, v140, v53
	v_add_f32_e32 v192, v141, v54
	v_sub_f32_e32 v140, v59, v57
	v_add_f32_e32 v141, v57, v59
	v_add_f32_e32 v15, v117, v15
	;; [unrolled: 1-line block ×4, first 2 shown]
	v_mul_f32_e32 v179, 0xbe3c28d5, v132
	v_mul_f32_e32 v182, 0xbf7ba420, v136
	v_add_f32_e32 v117, v56, v58
	v_sub_f32_e32 v118, v58, v56
	v_mul_f32_e32 v162, 0xbf06c442, v140
	v_mul_f32_e32 v163, 0xbf59a7d5, v141
	v_fma_f32 v54, 0xbf7ba420, v112, -v179
	v_fmamk_f32 v55, v114, 0xbe3c28d5, v182
	v_mul_f32_e32 v171, 0x3f2c7751, v140
	v_fma_f32 v173, 0xbf59a7d5, v117, -v162
	v_fmamk_f32 v177, v118, 0xbf06c442, v163
	v_add_f32_e32 v194, v54, v74
	v_add_f32_e32 v195, v55, v75
	v_mul_f32_e32 v178, 0xbf1a4643, v141
	v_add_f32_e32 v74, v173, v14
	v_add_f32_e32 v75, v177, v15
	v_mul_f32_e32 v173, 0x3f3d2fb0, v141
	v_mul_f32_e32 v177, 0xbf4c4adb, v140
	;; [unrolled: 1-line block ×4, first 2 shown]
	v_fma_f32 v54, 0x3f3d2fb0, v117, -v171
	v_fmamk_f32 v14, v118, 0x3f2c7751, v173
	v_fma_f32 v15, 0xbf1a4643, v117, -v177
	v_fmamk_f32 v196, v118, 0xbf4c4adb, v178
	v_fma_f32 v197, 0x3ee437d1, v117, -v186
	v_fmamk_f32 v198, v118, 0x3f65296c, v189
	v_add_f32_e32 v54, v54, v52
	v_add_f32_e32 v55, v14, v53
	;; [unrolled: 1-line block ×6, first 2 shown]
	s_barrier
	buffer_gl0_inv
	s_and_saveexec_b32 s1, vcc_lo
	s_cbranch_execz .LBB0_17
; %bb.16:
	v_add_f32_e32 v62, v62, v60
	v_add_f32_e32 v63, v63, v61
	v_mul_f32_e32 v192, 0xbf06c442, v106
	v_mul_f32_e32 v193, 0x3f2c7751, v110
	v_mul_f32_e32 v194, 0xbf4c4adb, v116
	v_add_f32_e32 v62, v64, v62
	v_add_f32_e32 v63, v65, v63
	v_mul_f32_e32 v195, 0x3f65296c, v124
	v_mul_f32_e32 v196, 0xbf763a35, v132
	v_mul_f32_e32 v197, 0x3dbcf732, v141
	;; [unrolled: 5-line block ×5, first 2 shown]
	v_add_f32_e32 v62, v76, v62
	v_add_f32_e32 v63, v77, v63
	v_fmamk_f32 v76, v151, 0xbf7ba420, v70
	v_fmamk_f32 v77, v151, 0xbf59a7d5, v71
	v_fma_f32 v70, 0xbf7ba420, v151, -v70
	v_add_f32_e32 v62, v78, v62
	v_add_f32_e32 v63, v79, v63
	;; [unrolled: 1-line block ×4, first 2 shown]
	v_fma_f32 v71, 0xbf59a7d5, v151, -v71
	v_add_f32_e32 v58, v58, v62
	v_add_f32_e32 v59, v59, v63
	v_mul_f32_e32 v62, 0xbf7ba420, v180
	v_mul_f32_e32 v63, 0xbf59a7d5, v180
	v_mul_f32_e32 v205, 0xbf7ee86f, v106
	v_add_f32_e32 v56, v56, v58
	v_add_f32_e32 v57, v57, v59
	v_fmamk_f32 v66, v160, 0x3e3c28d5, v62
	v_fmamk_f32 v67, v160, 0x3f06c442, v63
	v_mul_f32_e32 v59, 0x3ee437d1, v151
	v_add_f32_e32 v56, v80, v56
	v_add_f32_e32 v57, v81, v57
	;; [unrolled: 1-line block ×4, first 2 shown]
	v_mul_f32_e32 v206, 0x3f4c4adb, v110
	v_add_f32_e32 v56, v82, v56
	v_add_f32_e32 v57, v83, v57
	v_mul_f32_e32 v207, 0xbeb8f4ab, v116
	v_mul_f32_e32 v208, 0xbe3c28d5, v124
	v_mul_f32_e32 v209, 0x3f2c7751, v132
	v_add_f32_e32 v56, v72, v56
	v_add_f32_e32 v57, v73, v57
	v_mul_f32_e32 v72, 0xbf2c7751, v158
	v_mul_f32_e32 v73, 0xbeb8f4ab, v158
	;; [unrolled: 5-line block ×3, first 2 shown]
	v_fmamk_f32 v78, v151, 0x3f3d2fb0, v72
	v_add_f32_e32 v0, v0, v12
	v_add_f32_e32 v1, v1, v13
	v_mul_f32_e32 v13, 0xbe8c1d8e, v151
	v_mul_f32_e32 v12, 0xbf763a35, v160
	v_sub_f32_e32 v56, v185, v56
	v_add_f32_e32 v0, v2, v0
	v_mul_f32_e32 v2, 0xbf4c4adb, v160
	v_add_f32_e32 v1, v3, v1
	v_mul_f32_e32 v3, 0xbf1a4643, v151
	v_add_f32_e32 v13, v13, v187
	v_add_f32_e32 v0, v85, v0
	v_sub_f32_e32 v2, v191, v2
	v_mul_f32_e32 v85, 0x3f6eb680, v103
	v_add_f32_e32 v3, v3, v190
	v_add_f32_e32 v1, v86, v1
	v_mul_f32_e32 v86, 0xbf59a7d5, v109
	v_add_f32_e32 v80, v61, v2
	v_fmamk_f32 v2, v97, 0xbeb8f4ab, v85
	v_add_f32_e32 v81, v60, v3
	v_mul_f32_e32 v187, 0x3f3d2fb0, v115
	v_fmamk_f32 v3, v99, 0x3f06c442, v86
	v_sub_f32_e32 v12, v188, v12
	v_add_f32_e32 v2, v2, v66
	v_mul_f32_e32 v188, 0xbf1a4643, v120
	v_mul_f32_e32 v190, 0x3ee437d1, v127
	v_mul_f32_e32 v191, 0x3eb8f4ab, v102
	v_add_f32_e32 v82, v61, v12
	v_add_f32_e32 v2, v3, v2
	v_fmamk_f32 v3, v101, 0xbf2c7751, v187
	v_add_f32_e32 v83, v60, v13
	v_fmamk_f32 v13, v99, 0x3f7ee86f, v200
	v_fma_f32 v72, 0x3f3d2fb0, v151, -v72
	v_fmamk_f32 v79, v151, 0x3f6eb680, v73
	v_add_f32_e32 v2, v3, v2
	v_fmamk_f32 v3, v105, 0x3f4c4adb, v188
	v_fma_f32 v73, 0x3f6eb680, v151, -v73
	v_add_f32_e32 v151, v61, v56
	v_mul_f32_e32 v211, 0xbf763a35, v140
	v_add_f32_e32 v57, v57, v184
	v_add_f32_e32 v2, v3, v2
	v_fmamk_f32 v3, v108, 0xbf65296c, v190
	v_mul_f32_e32 v58, 0xbf65296c, v160
	v_mul_f32_e32 v64, 0x3f3d2fb0, v180
	v_add_f32_e32 v158, v60, v57
	v_mul_f32_e32 v57, 0xbeb8f4ab, v99
	v_add_f32_e32 v2, v3, v2
	v_fmamk_f32 v3, v96, 0x3f6eb680, v191
	v_sub_f32_e32 v58, v183, v58
	v_mul_f32_e32 v65, 0x3f6eb680, v180
	v_sub_f32_e32 v57, v154, v57
	v_fmac_f32_e32 v62, 0xbe3c28d5, v160
	v_add_f32_e32 v3, v3, v76
	v_mul_f32_e32 v76, 0xbe8c1d8e, v136
	v_fmac_f32_e32 v63, 0xbf06c442, v160
	v_fmamk_f32 v68, v160, 0x3f2c7751, v64
	v_fmac_f32_e32 v64, 0xbf2c7751, v160
	v_fmamk_f32 v69, v160, 0x3eb8f4ab, v65
	v_fmamk_f32 v12, v114, 0x3f763a35, v76
	v_fmac_f32_e32 v65, 0xbeb8f4ab, v160
	v_add_f32_e32 v160, v61, v58
	v_mul_f32_e32 v58, 0xbe8c1d8e, v96
	v_add_f32_e32 v59, v59, v181
	v_add_f32_e32 v2, v12, v2
	v_fmamk_f32 v12, v98, 0xbf59a7d5, v192
	v_add_f32_e32 v78, v60, v78
	v_add_f32_e32 v58, v58, v139
	;; [unrolled: 1-line block ×3, first 2 shown]
	v_mul_f32_e32 v59, 0xbf2c7751, v108
	v_add_f32_e32 v3, v12, v3
	v_fmamk_f32 v12, v100, 0x3f3d2fb0, v193
	v_add_f32_e32 v79, v60, v79
	v_add_f32_e32 v70, v60, v70
	v_sub_f32_e32 v59, v176, v59
	v_add_f32_e32 v71, v60, v71
	v_add_f32_e32 v3, v12, v3
	v_fmamk_f32 v12, v104, 0xbf1a4643, v194
	v_add_f32_e32 v72, v60, v72
	v_add_f32_e32 v73, v60, v73
	;; [unrolled: 1-line block ×5, first 2 shown]
	v_fmamk_f32 v12, v107, 0x3ee437d1, v195
	v_add_f32_e32 v181, v61, v62
	v_add_f32_e32 v183, v61, v63
	;; [unrolled: 1-line block ×5, first 2 shown]
	v_fmamk_f32 v12, v112, 0xbe8c1d8e, v196
	v_mul_f32_e32 v61, 0x3f3d2fb0, v98
	v_mul_f32_e32 v63, 0xbe8c1d8e, v98
	;; [unrolled: 1-line block ×3, first 2 shown]
	v_fmac_f32_e32 v85, 0x3eb8f4ab, v97
	v_add_f32_e32 v12, v12, v3
	v_fmamk_f32 v3, v118, 0xbf7ee86f, v197
	v_add_f32_e32 v61, v61, v137
	v_add_f32_e32 v63, v63, v126
	v_sub_f32_e32 v65, v146, v65
	v_mul_f32_e32 v126, 0x3f6eb680, v141
	v_add_f32_e32 v3, v3, v2
	v_fmamk_f32 v2, v117, 0x3dbcf732, v198
	v_fmac_f32_e32 v86, 0xbf06c442, v99
	v_fmac_f32_e32 v187, 0x3f2c7751, v101
	;; [unrolled: 1-line block ×4, first 2 shown]
	v_add_f32_e32 v2, v2, v12
	v_fmamk_f32 v12, v97, 0xbf65296c, v199
	v_fmac_f32_e32 v76, 0xbf763a35, v114
	v_fmac_f32_e32 v197, 0x3f7ee86f, v118
	;; [unrolled: 1-line block ×4, first 2 shown]
	v_add_f32_e32 v12, v12, v67
	v_add_f32_e32 v12, v13, v12
	v_fmamk_f32 v13, v101, 0xbf4c4adb, v201
	v_fmac_f32_e32 v201, 0x3f4c4adb, v101
	v_add_f32_e32 v12, v13, v12
	v_fmamk_f32 v13, v105, 0x3eb8f4ab, v202
	v_fmac_f32_e32 v202, 0xbeb8f4ab, v105
	;; [unrolled: 3-line block ×3, first 2 shown]
	v_add_f32_e32 v12, v13, v12
	v_fmamk_f32 v13, v96, 0x3ee437d1, v204
	v_add_f32_e32 v13, v13, v77
	v_mul_f32_e32 v77, 0x3f3d2fb0, v136
	v_fmamk_f32 v56, v114, 0xbf2c7751, v77
	v_fmac_f32_e32 v77, 0x3f2c7751, v114
	v_add_f32_e32 v12, v56, v12
	v_fmamk_f32 v56, v98, 0x3dbcf732, v205
	v_add_f32_e32 v13, v56, v13
	v_fmamk_f32 v56, v100, 0xbf1a4643, v206
	;; [unrolled: 2-line block ×6, first 2 shown]
	v_fmac_f32_e32 v210, 0xbf763a35, v118
	v_add_f32_e32 v13, v13, v12
	v_fmamk_f32 v12, v117, 0xbe8c1d8e, v211
	v_add_f32_e32 v12, v12, v56
	v_mul_f32_e32 v56, 0x3f763a35, v97
	v_sub_f32_e32 v56, v143, v56
	v_add_f32_e32 v56, v56, v80
	v_mul_f32_e32 v80, 0x3dbcf732, v103
	v_mul_f32_e32 v103, 0x3f3d2fb0, v103
	v_add_f32_e32 v56, v57, v56
	v_mul_f32_e32 v57, 0xbf06c442, v101
	v_sub_f32_e32 v57, v165, v57
	v_add_f32_e32 v56, v57, v56
	v_mul_f32_e32 v57, 0x3f7ee86f, v105
	v_sub_f32_e32 v57, v170, v57
	v_add_f32_e32 v56, v57, v56
	v_add_f32_e32 v57, v58, v81
	v_mul_f32_e32 v58, 0x3f6eb680, v98
	v_mul_f32_e32 v81, 0xbf1a4643, v109
	;; [unrolled: 1-line block ×3, first 2 shown]
	v_add_f32_e32 v56, v59, v56
	v_mul_f32_e32 v59, 0xbe3c28d5, v114
	v_add_f32_e32 v58, v58, v152
	v_fmamk_f32 v67, v99, 0x3f65296c, v109
	v_fmac_f32_e32 v109, 0xbf65296c, v99
	v_sub_f32_e32 v59, v182, v59
	v_add_f32_e32 v57, v58, v57
	v_mul_f32_e32 v58, 0xbf59a7d5, v100
	v_add_f32_e32 v56, v59, v56
	v_mul_f32_e32 v59, 0x3f65296c, v118
	v_add_f32_e32 v58, v58, v159
	v_sub_f32_e32 v59, v189, v59
	v_add_f32_e32 v57, v58, v57
	v_mul_f32_e32 v58, 0x3dbcf732, v104
	v_add_f32_e32 v58, v58, v168
	v_add_f32_e32 v57, v58, v57
	v_mul_f32_e32 v58, 0x3f3d2fb0, v107
	v_add_f32_e32 v58, v58, v175
	;; [unrolled: 3-line block ×5, first 2 shown]
	v_mul_f32_e32 v58, 0x3f06c442, v97
	v_sub_f32_e32 v59, v142, v59
	v_mul_f32_e32 v60, 0xbf59a7d5, v96
	v_sub_f32_e32 v58, v131, v58
	v_mul_f32_e32 v131, 0xbe3c28d5, v140
	v_add_f32_e32 v60, v60, v130
	v_mul_f32_e32 v130, 0xbf7ba420, v141
	v_add_f32_e32 v58, v58, v82
	;; [unrolled: 2-line block ×3, first 2 shown]
	v_mul_f32_e32 v83, 0xbf59a7d5, v120
	v_mul_f32_e32 v115, 0x3dbcf732, v115
	v_add_f32_e32 v58, v59, v58
	v_mul_f32_e32 v59, 0xbf65296c, v101
	v_add_f32_e32 v60, v61, v60
	v_mul_f32_e32 v61, 0x3ee437d1, v100
	v_mul_f32_e32 v120, 0xbe8c1d8e, v120
	v_sub_f32_e32 v59, v149, v59
	v_add_f32_e32 v61, v61, v147
	v_add_f32_e32 v58, v59, v58
	v_mul_f32_e32 v59, 0xbe3c28d5, v105
	v_sub_f32_e32 v59, v161, v59
	v_add_f32_e32 v58, v59, v58
	v_mul_f32_e32 v59, 0x3f7ee86f, v108
	v_sub_f32_e32 v59, v169, v59
	v_add_f32_e32 v58, v59, v58
	v_add_f32_e32 v59, v61, v60
	v_mul_f32_e32 v60, 0xbf7ba420, v104
	v_mul_f32_e32 v61, 0xbeb8f4ab, v114
	v_add_f32_e32 v60, v60, v157
	v_sub_f32_e32 v61, v174, v61
	v_add_f32_e32 v59, v60, v59
	v_mul_f32_e32 v60, 0x3dbcf732, v107
	v_add_f32_e32 v58, v61, v58
	v_mul_f32_e32 v61, 0xbf4c4adb, v118
	v_add_f32_e32 v60, v60, v166
	v_sub_f32_e32 v61, v178, v61
	v_add_f32_e32 v59, v60, v59
	v_mul_f32_e32 v60, 0x3f6eb680, v112
	v_add_f32_e32 v60, v60, v172
	v_add_f32_e32 v60, v60, v59
	v_mul_f32_e32 v59, 0xbf1a4643, v117
	v_add_f32_e32 v62, v59, v177
	;; [unrolled: 3-line block ×3, first 2 shown]
	v_mul_f32_e32 v60, 0xbe3c28d5, v97
	v_sub_f32_e32 v61, v129, v61
	v_mul_f32_e32 v62, 0xbf7ba420, v96
	v_mul_f32_e32 v129, 0xbf06c442, v132
	v_sub_f32_e32 v60, v123, v60
	v_mul_f32_e32 v123, 0x3f763a35, v124
	v_add_f32_e32 v62, v62, v121
	v_mul_f32_e32 v121, 0xbe3c28d5, v110
	v_mul_f32_e32 v110, 0xbf7ee86f, v110
	v_add_f32_e32 v60, v60, v151
	v_mul_f32_e32 v124, 0xbf4c4adb, v124
	v_add_f32_e32 v62, v62, v158
	v_add_f32_e32 v60, v61, v60
	v_mul_f32_e32 v61, 0x3eb8f4ab, v101
	v_add_f32_e32 v62, v63, v62
	v_mul_f32_e32 v63, 0x3f6eb680, v100
	v_sub_f32_e32 v61, v138, v61
	v_add_f32_e32 v63, v63, v134
	v_add_f32_e32 v60, v61, v60
	v_mul_f32_e32 v61, 0xbf65296c, v105
	v_add_f32_e32 v62, v63, v62
	v_mul_f32_e32 v63, 0x3ee437d1, v104
	v_sub_f32_e32 v61, v148, v61
	;; [unrolled: 6-line block ×3, first 2 shown]
	v_add_f32_e32 v63, v63, v153
	v_add_f32_e32 v60, v61, v60
	v_mul_f32_e32 v61, 0x3f4c4adb, v114
	v_sub_f32_e32 v61, v167, v61
	v_add_f32_e32 v60, v61, v60
	v_add_f32_e32 v61, v63, v62
	v_mul_f32_e32 v62, 0xbf1a4643, v112
	v_mul_f32_e32 v63, 0x3f2c7751, v118
	v_add_f32_e32 v62, v62, v164
	v_sub_f32_e32 v63, v173, v63
	v_add_f32_e32 v62, v62, v61
	v_mul_f32_e32 v61, 0x3f3d2fb0, v117
	v_add_f32_e32 v64, v61, v171
	v_add_f32_e32 v61, v63, v60
	v_mul_f32_e32 v63, 0x3e3c28d5, v99
	v_add_f32_e32 v60, v64, v62
	v_mul_f32_e32 v62, 0xbf4c4adb, v97
	v_sub_f32_e32 v63, v122, v63
	v_mul_f32_e32 v64, 0xbf1a4643, v96
	v_mul_f32_e32 v122, 0x3f06c442, v116
	;; [unrolled: 1-line block ×3, first 2 shown]
	v_sub_f32_e32 v62, v113, v62
	v_mul_f32_e32 v113, 0x3ee437d1, v136
	v_add_f32_e32 v64, v64, v111
	v_mul_f32_e32 v111, 0xbe8c1d8e, v127
	v_mul_f32_e32 v127, 0xbf1a4643, v127
	v_add_f32_e32 v62, v62, v160
	v_add_f32_e32 v62, v63, v62
	v_mul_f32_e32 v63, 0x3f763a35, v101
	v_sub_f32_e32 v63, v128, v63
	v_mul_f32_e32 v128, 0x3eb8f4ab, v140
	v_add_f32_e32 v62, v63, v62
	v_mul_f32_e32 v63, 0x3f2c7751, v105
	v_sub_f32_e32 v63, v135, v63
	v_add_f32_e32 v62, v63, v62
	v_add_f32_e32 v63, v64, v180
	v_mul_f32_e32 v64, 0xbf7ba420, v98
	v_add_f32_e32 v62, v65, v62
	v_mul_f32_e32 v65, 0xbf7ee86f, v114
	;; [unrolled: 2-line block ×3, first 2 shown]
	v_mul_f32_e32 v102, 0xbf2c7751, v102
	v_sub_f32_e32 v65, v155, v65
	v_add_f32_e32 v63, v64, v63
	v_mul_f32_e32 v64, 0xbe8c1d8e, v100
	v_add_f32_e32 v62, v65, v62
	v_mul_f32_e32 v65, 0xbf06c442, v118
	;; [unrolled: 2-line block ×3, first 2 shown]
	v_sub_f32_e32 v65, v163, v65
	v_add_f32_e32 v63, v64, v63
	v_mul_f32_e32 v64, 0x3f3d2fb0, v104
	v_add_f32_e32 v64, v64, v133
	v_add_f32_e32 v63, v64, v63
	v_mul_f32_e32 v64, 0x3f6eb680, v107
	v_add_f32_e32 v64, v64, v144
	;; [unrolled: 3-line block ×4, first 2 shown]
	v_add_f32_e32 v63, v65, v62
	v_fmamk_f32 v65, v99, 0x3f4c4adb, v81
	v_fmac_f32_e32 v81, 0xbf4c4adb, v99
	v_add_f32_e32 v62, v66, v64
	v_fmamk_f32 v64, v97, 0x3f7ee86f, v80
	v_fmac_f32_e32 v80, 0xbf7ee86f, v97
	v_add_f32_e32 v64, v64, v68
	v_add_f32_e32 v64, v65, v64
	v_fmamk_f32 v65, v101, 0x3e3c28d5, v82
	v_fmac_f32_e32 v82, 0xbe3c28d5, v101
	v_add_f32_e32 v64, v65, v64
	v_fmamk_f32 v65, v105, 0xbf06c442, v83
	v_fmac_f32_e32 v83, 0x3f06c442, v105
	;; [unrolled: 3-line block ×4, first 2 shown]
	v_add_f32_e32 v64, v65, v64
	v_fmamk_f32 v65, v96, 0x3dbcf732, v119
	v_add_f32_e32 v65, v65, v78
	v_mul_f32_e32 v78, 0xbf4c4adb, v106
	v_mul_f32_e32 v106, 0xbf65296c, v106
	v_fmamk_f32 v66, v98, 0xbf1a4643, v78
	v_fma_f32 v78, 0xbf1a4643, v98, -v78
	v_add_f32_e32 v65, v66, v65
	v_fmamk_f32 v66, v100, 0xbf7ba420, v121
	v_add_f32_e32 v65, v66, v65
	v_fmamk_f32 v66, v104, 0xbf59a7d5, v122
	;; [unrolled: 2-line block ×5, first 2 shown]
	v_fmac_f32_e32 v126, 0x3eb8f4ab, v118
	v_add_f32_e32 v65, v65, v64
	v_fmamk_f32 v64, v117, 0x3f6eb680, v128
	v_add_f32_e32 v64, v64, v66
	v_fmamk_f32 v66, v97, 0x3f2c7751, v103
	v_fmac_f32_e32 v103, 0xbf2c7751, v97
	v_add_f32_e32 v66, v66, v69
	v_fma_f32 v69, 0x3f6eb680, v96, -v191
	v_add_f32_e32 v66, v67, v66
	v_fmamk_f32 v67, v101, 0x3f7ee86f, v115
	v_add_f32_e32 v69, v69, v70
	v_fma_f32 v70, 0xbf59a7d5, v98, -v192
	v_fmac_f32_e32 v115, 0xbf7ee86f, v101
	v_add_f32_e32 v66, v67, v66
	v_fmamk_f32 v67, v105, 0x3f763a35, v120
	v_add_f32_e32 v69, v70, v69
	v_fma_f32 v70, 0x3f3d2fb0, v100, -v193
	v_fmac_f32_e32 v120, 0xbf763a35, v105
	;; [unrolled: 5-line block ×3, first 2 shown]
	v_add_f32_e32 v66, v67, v66
	v_fmamk_f32 v67, v96, 0x3f3d2fb0, v102
	v_add_f32_e32 v69, v70, v69
	v_fma_f32 v70, 0x3ee437d1, v107, -v195
	v_add_f32_e32 v67, v67, v79
	v_mul_f32_e32 v79, 0xbf59a7d5, v136
	v_add_f32_e32 v69, v70, v69
	v_fma_f32 v70, 0xbe8c1d8e, v112, -v196
	v_fmamk_f32 v68, v114, 0x3f06c442, v79
	v_fmac_f32_e32 v79, 0xbf06c442, v114
	v_add_f32_e32 v70, v70, v69
	v_add_f32_e32 v66, v68, v66
	v_fmamk_f32 v68, v98, 0x3ee437d1, v106
	v_add_f32_e32 v67, v68, v67
	v_fmamk_f32 v68, v100, 0x3dbcf732, v110
	v_add_f32_e32 v67, v68, v67
	v_fmamk_f32 v68, v104, 0xbe8c1d8e, v116
	v_add_f32_e32 v67, v68, v67
	v_fmamk_f32 v68, v107, 0xbf1a4643, v124
	v_add_f32_e32 v67, v68, v67
	v_fmamk_f32 v68, v112, 0xbf59a7d5, v129
	v_add_f32_e32 v68, v68, v67
	v_fmamk_f32 v67, v118, 0x3e3c28d5, v130
	v_fmac_f32_e32 v130, 0xbe3c28d5, v118
	v_add_f32_e32 v67, v67, v66
	v_fmamk_f32 v66, v117, 0xbf7ba420, v131
	v_add_f32_e32 v66, v66, v68
	v_add_f32_e32 v68, v85, v181
	;; [unrolled: 1-line block ×7, first 2 shown]
	v_fma_f32 v76, 0x3dbcf732, v117, -v198
	v_add_f32_e32 v69, v197, v68
	v_add_f32_e32 v68, v76, v70
	v_fma_f32 v76, 0x3ee437d1, v96, -v204
	v_add_f32_e32 v70, v199, v183
	v_add_f32_e32 v71, v76, v71
	;; [unrolled: 3-line block ×6, first 2 shown]
	v_fma_f32 v76, 0x3f3d2fb0, v112, -v209
	v_add_f32_e32 v70, v77, v70
	v_fma_f32 v77, 0xbe8c1d8e, v117, -v211
	v_add_f32_e32 v76, v76, v71
	v_add_f32_e32 v71, v210, v70
	;; [unrolled: 1-line block ×3, first 2 shown]
	v_fma_f32 v77, 0x3dbcf732, v96, -v119
	v_add_f32_e32 v76, v80, v184
	v_fma_f32 v80, 0xbf7ba420, v100, -v121
	v_add_f32_e32 v72, v77, v72
	;; [unrolled: 2-line block ×3, first 2 shown]
	v_and_b32_e32 v81, 0xffff, v91
	v_add_f32_e32 v72, v78, v72
	v_add_f32_e32 v78, v103, v185
	;; [unrolled: 1-line block ×3, first 2 shown]
	v_fma_f32 v77, 0x3ee437d1, v98, -v106
	v_add_f32_e32 v76, v82, v76
	v_add_f32_e32 v72, v80, v72
	v_add_f32_e32 v78, v109, v78
	v_fma_f32 v80, 0xbf59a7d5, v104, -v122
	v_add_f32_e32 v73, v77, v73
	v_fma_f32 v77, 0x3dbcf732, v100, -v110
	v_add_f32_e32 v76, v83, v76
	v_add_f32_e32 v78, v115, v78
	v_add_f32_e32 v72, v80, v72
	v_fma_f32 v80, 0xbe8c1d8e, v107, -v123
	v_add_f32_e32 v73, v77, v73
	;; [unrolled: 6-line block ×4, first 2 shown]
	v_fma_f32 v77, 0xbf59a7d5, v112, -v129
	v_add_f32_e32 v78, v79, v78
	v_fma_f32 v82, 0xbf7ba420, v117, -v131
	v_lshl_add_u32 v81, v81, 3, v90
	v_add_f32_e32 v72, v80, v72
	v_add_f32_e32 v79, v77, v73
	;; [unrolled: 1-line block ×5, first 2 shown]
	ds_write2_b64 v81, v[0:1], v[66:67] offset1:1
	ds_write2_b64 v81, v[64:65], v[62:63] offset0:2 offset1:3
	ds_write2_b64 v81, v[60:61], v[58:59] offset0:4 offset1:5
	;; [unrolled: 1-line block ×7, first 2 shown]
	ds_write_b64 v81, v[76:77] offset:128
.LBB0_17:
	s_or_b32 exec_lo, exec_lo, s1
	s_waitcnt lgkmcnt(0)
	s_barrier
	buffer_gl0_inv
	ds_read2_b64 v[0:3], v92 offset1:85
	ds_read2_b64 v[58:61], v92 offset0:170 offset1:255
	v_add_nc_u32_e32 v57, 0x800, v92
	v_add_nc_u32_e32 v12, 0xc00, v92
	;; [unrolled: 1-line block ×3, first 2 shown]
	ds_read2_b64 v[62:65], v57 offset0:84 offset1:169
	ds_read2_b64 v[66:69], v12 offset0:126 offset1:211
	ds_read_b64 v[12:13], v92 offset:6800
	ds_read2_b64 v[70:73], v56 offset0:168 offset1:253
	s_waitcnt lgkmcnt(0)
	s_barrier
	buffer_gl0_inv
	v_mul_f32_e32 v76, v33, v3
	v_mul_f32_e32 v33, v33, v2
	;; [unrolled: 1-line block ×6, first 2 shown]
	v_fmac_f32_e32 v76, v32, v2
	v_fma_f32 v2, v32, v3, -v33
	v_fmac_f32_e32 v78, v28, v60
	v_fma_f32 v28, v28, v61, -v29
	v_mul_f32_e32 v29, v31, v63
	v_mul_f32_e32 v3, v31, v62
	v_fmac_f32_e32 v77, v34, v58
	v_fma_f32 v32, v34, v59, -v35
	v_mul_f32_e32 v31, v21, v65
	v_mul_f32_e32 v21, v21, v64
	v_fmac_f32_e32 v29, v30, v62
	v_fma_f32 v30, v30, v63, -v3
	v_add_f32_e32 v3, v0, v76
	v_add_f32_e32 v34, v1, v2
	v_mul_f32_e32 v33, v23, v67
	v_fmac_f32_e32 v31, v20, v64
	v_fma_f32 v20, v20, v65, -v21
	v_mul_f32_e32 v21, v23, v66
	v_add_f32_e32 v3, v3, v77
	v_add_f32_e32 v23, v34, v32
	v_fmac_f32_e32 v33, v22, v66
	v_mul_f32_e32 v34, v17, v69
	v_fma_f32 v21, v22, v67, -v21
	v_add_f32_e32 v3, v3, v78
	v_add_f32_e32 v22, v23, v28
	v_mul_f32_e32 v17, v17, v68
	v_fmac_f32_e32 v34, v16, v68
	v_mul_f32_e32 v23, v25, v73
	v_add_f32_e32 v3, v3, v29
	v_add_f32_e32 v22, v22, v30
	v_fma_f32 v16, v16, v69, -v17
	v_mul_f32_e32 v17, v19, v71
	v_mul_f32_e32 v19, v19, v70
	v_add_f32_e32 v3, v3, v31
	v_add_f32_e32 v22, v22, v20
	v_mul_f32_e32 v25, v25, v72
	v_fmac_f32_e32 v17, v18, v70
	v_fma_f32 v18, v18, v71, -v19
	v_mul_f32_e32 v19, v27, v12
	v_add_f32_e32 v3, v3, v33
	v_add_f32_e32 v22, v22, v21
	v_mul_f32_e32 v27, v27, v13
	v_fmac_f32_e32 v23, v24, v72
	v_fma_f32 v13, v26, v13, -v19
	v_add_f32_e32 v3, v3, v34
	v_add_f32_e32 v19, v22, v16
	v_fmac_f32_e32 v27, v26, v12
	v_fma_f32 v12, v24, v73, -v25
	v_sub_f32_e32 v22, v2, v13
	v_add_f32_e32 v3, v3, v17
	v_add_f32_e32 v19, v19, v18
	;; [unrolled: 1-line block ×4, first 2 shown]
	v_mul_f32_e32 v26, 0xbf0a6770, v22
	v_add_f32_e32 v2, v3, v23
	v_add_f32_e32 v3, v19, v12
	v_mul_f32_e32 v61, 0xbf7d64f0, v22
	v_mul_f32_e32 v66, 0xbf4178ce, v22
	v_sub_f32_e32 v71, v32, v12
	v_sub_f32_e32 v19, v76, v27
	v_add_f32_e32 v3, v3, v13
	v_mul_f32_e32 v13, 0xbf68dda4, v22
	v_mul_f32_e32 v22, 0xbe903f40, v22
	v_mul_f32_e32 v35, 0x3f575c64, v25
	v_fmamk_f32 v58, v24, 0x3f575c64, v26
	v_fma_f32 v26, 0x3f575c64, v24, -v26
	v_fmamk_f32 v59, v24, 0x3ed4b147, v13
	v_mul_f32_e32 v60, 0x3ed4b147, v25
	v_fma_f32 v13, 0x3ed4b147, v24, -v13
	v_mul_f32_e32 v63, 0xbe11bafb, v25
	v_fmamk_f32 v64, v24, 0xbe11bafb, v61
	v_fma_f32 v61, 0xbe11bafb, v24, -v61
	v_mul_f32_e32 v67, 0xbf27a4f4, v25
	v_fmamk_f32 v68, v24, 0xbf27a4f4, v66
	v_fma_f32 v66, 0xbf27a4f4, v24, -v66
	v_fmamk_f32 v70, v24, 0xbf75a155, v22
	v_mul_f32_e32 v25, 0xbf75a155, v25
	v_fma_f32 v22, 0xbf75a155, v24, -v22
	v_add_f32_e32 v12, v32, v12
	v_add_f32_e32 v24, v77, v23
	v_mul_f32_e32 v32, 0xbf68dda4, v71
	v_add_f32_e32 v2, v2, v27
	v_fmamk_f32 v27, v19, 0x3f0a6770, v35
	v_add_f32_e32 v58, v0, v58
	v_fmac_f32_e32 v35, 0xbf0a6770, v19
	v_fmamk_f32 v62, v19, 0x3f68dda4, v60
	v_fmac_f32_e32 v60, 0xbf68dda4, v19
	v_fmamk_f32 v65, v19, 0x3f7d64f0, v63
	;; [unrolled: 2-line block ×4, first 2 shown]
	v_fmac_f32_e32 v25, 0xbe903f40, v19
	v_sub_f32_e32 v19, v77, v23
	v_mul_f32_e32 v23, 0x3ed4b147, v12
	v_fmamk_f32 v73, v24, 0x3ed4b147, v32
	v_add_f32_e32 v27, v1, v27
	v_add_f32_e32 v26, v0, v26
	v_add_f32_e32 v35, v1, v35
	v_add_f32_e32 v59, v0, v59
	v_add_f32_e32 v62, v1, v62
	v_add_f32_e32 v13, v0, v13
	v_add_f32_e32 v60, v1, v60
	v_add_f32_e32 v64, v0, v64
	v_add_f32_e32 v65, v1, v65
	v_add_f32_e32 v61, v0, v61
	v_add_f32_e32 v63, v1, v63
	v_add_f32_e32 v68, v0, v68
	v_add_f32_e32 v69, v1, v69
	v_add_f32_e32 v66, v0, v66
	v_add_f32_e32 v67, v1, v67
	v_add_f32_e32 v70, v0, v70
	v_add_f32_e32 v72, v1, v72
	v_add_f32_e32 v0, v0, v22
	v_add_f32_e32 v1, v1, v25
	v_fmamk_f32 v22, v19, 0x3f68dda4, v23
	v_mul_f32_e32 v25, 0xbf4178ce, v71
	v_add_f32_e32 v58, v73, v58
	v_fma_f32 v32, 0x3ed4b147, v24, -v32
	v_fmac_f32_e32 v23, 0xbf68dda4, v19
	v_mul_f32_e32 v73, 0xbf27a4f4, v12
	v_add_f32_e32 v22, v22, v27
	v_fmamk_f32 v27, v24, 0xbf27a4f4, v25
	v_add_f32_e32 v26, v32, v26
	v_add_f32_e32 v23, v23, v35
	v_mul_f32_e32 v32, 0x3e903f40, v71
	v_fmamk_f32 v35, v19, 0x3f4178ce, v73
	v_fma_f32 v25, 0xbf27a4f4, v24, -v25
	v_fmac_f32_e32 v73, 0xbf4178ce, v19
	v_mul_f32_e32 v76, 0xbf75a155, v12
	v_add_f32_e32 v27, v27, v59
	v_fmamk_f32 v59, v24, 0xbf75a155, v32
	v_add_f32_e32 v35, v35, v62
	v_add_f32_e32 v13, v25, v13
	;; [unrolled: 1-line block ×3, first 2 shown]
	v_fmamk_f32 v60, v19, 0xbe903f40, v76
	v_mul_f32_e32 v62, 0x3f7d64f0, v71
	v_add_f32_e32 v59, v59, v64
	v_fma_f32 v32, 0xbf75a155, v24, -v32
	v_mul_f32_e32 v64, 0xbe11bafb, v12
	v_add_f32_e32 v60, v60, v65
	v_fmamk_f32 v65, v24, 0xbe11bafb, v62
	v_mul_f32_e32 v71, 0x3f0a6770, v71
	v_fma_f32 v62, 0xbe11bafb, v24, -v62
	v_add_f32_e32 v32, v32, v61
	v_fmamk_f32 v61, v19, 0xbf7d64f0, v64
	v_add_f32_e32 v65, v65, v68
	v_fmac_f32_e32 v64, 0x3f7d64f0, v19
	v_fmamk_f32 v68, v24, 0x3f575c64, v71
	v_add_f32_e32 v62, v62, v66
	v_sub_f32_e32 v66, v28, v18
	v_add_f32_e32 v61, v61, v69
	v_mul_f32_e32 v12, 0x3f575c64, v12
	v_add_f32_e32 v64, v64, v67
	v_add_f32_e32 v67, v68, v70
	;; [unrolled: 1-line block ×3, first 2 shown]
	v_mul_f32_e32 v70, 0xbf7d64f0, v66
	v_add_f32_e32 v18, v28, v18
	v_fmac_f32_e32 v76, 0x3e903f40, v19
	v_fmamk_f32 v68, v19, 0xbf0a6770, v12
	v_fma_f32 v24, 0x3f575c64, v24, -v71
	v_fmac_f32_e32 v12, 0x3f0a6770, v19
	v_sub_f32_e32 v17, v78, v17
	v_fmamk_f32 v19, v69, 0xbe11bafb, v70
	v_mul_f32_e32 v28, 0xbe11bafb, v18
	v_add_f32_e32 v0, v24, v0
	v_add_f32_e32 v1, v12, v1
	v_mul_f32_e32 v24, 0x3e903f40, v66
	v_add_f32_e32 v12, v19, v58
	v_fmamk_f32 v19, v17, 0x3f7d64f0, v28
	v_fma_f32 v58, 0xbe11bafb, v69, -v70
	v_fmac_f32_e32 v28, 0xbf7d64f0, v17
	v_mul_f32_e32 v70, 0xbf75a155, v18
	v_mul_f32_e32 v71, 0x3f575c64, v18
	v_add_f32_e32 v19, v19, v22
	v_fmamk_f32 v22, v69, 0xbf75a155, v24
	v_add_f32_e32 v26, v58, v26
	v_add_f32_e32 v23, v28, v23
	v_fmamk_f32 v28, v17, 0xbe903f40, v70
	v_mul_f32_e32 v58, 0x3f68dda4, v66
	v_add_f32_e32 v22, v22, v27
	v_fma_f32 v24, 0xbf75a155, v69, -v24
	v_fmac_f32_e32 v70, 0x3e903f40, v17
	v_add_f32_e32 v27, v28, v35
	v_fmamk_f32 v28, v69, 0x3ed4b147, v58
	v_mul_f32_e32 v35, 0x3ed4b147, v18
	v_add_f32_e32 v13, v24, v13
	v_add_f32_e32 v24, v70, v25
	v_mul_f32_e32 v25, 0xbf0a6770, v66
	v_add_f32_e32 v28, v28, v59
	v_fmamk_f32 v59, v17, 0xbf68dda4, v35
	v_add_f32_e32 v63, v76, v63
	v_fma_f32 v58, 0x3ed4b147, v69, -v58
	v_fmamk_f32 v70, v69, 0x3f575c64, v25
	v_fma_f32 v25, 0x3f575c64, v69, -v25
	v_add_f32_e32 v59, v59, v60
	v_fmamk_f32 v60, v17, 0x3f0a6770, v71
	v_fmac_f32_e32 v71, 0xbf0a6770, v17
	v_fmac_f32_e32 v35, 0x3f68dda4, v17
	v_mul_f32_e32 v18, 0xbf27a4f4, v18
	v_add_f32_e32 v25, v25, v62
	v_add_f32_e32 v32, v58, v32
	;; [unrolled: 1-line block ×3, first 2 shown]
	v_sub_f32_e32 v64, v30, v16
	v_add_f32_e32 v35, v35, v63
	v_add_f32_e32 v58, v70, v65
	v_mul_f32_e32 v63, 0xbf4178ce, v66
	v_fmamk_f32 v65, v17, 0x3f4178ce, v18
	v_add_f32_e32 v66, v29, v34
	v_add_f32_e32 v16, v30, v16
	v_mul_f32_e32 v30, 0xbf4178ce, v64
	v_fmac_f32_e32 v18, 0xbf4178ce, v17
	v_add_f32_e32 v60, v60, v61
	v_fmamk_f32 v61, v69, 0xbf27a4f4, v63
	v_fma_f32 v63, 0xbf27a4f4, v69, -v63
	v_sub_f32_e32 v17, v29, v34
	v_mul_f32_e32 v29, 0xbf27a4f4, v16
	v_fmamk_f32 v34, v66, 0xbf27a4f4, v30
	v_add_f32_e32 v1, v18, v1
	v_mul_f32_e32 v18, 0x3f7d64f0, v64
	v_add_f32_e32 v0, v63, v0
	v_fmamk_f32 v63, v17, 0x3f4178ce, v29
	v_add_f32_e32 v12, v34, v12
	v_fma_f32 v30, 0xbf27a4f4, v66, -v30
	v_fmamk_f32 v34, v66, 0xbe11bafb, v18
	v_fmac_f32_e32 v29, 0xbf4178ce, v17
	v_add_f32_e32 v19, v63, v19
	v_mul_f32_e32 v63, 0xbe11bafb, v16
	v_fma_f32 v18, 0xbe11bafb, v66, -v18
	v_add_f32_e32 v22, v34, v22
	v_mul_f32_e32 v34, 0x3f575c64, v16
	v_add_f32_e32 v26, v30, v26
	v_add_f32_e32 v23, v29, v23
	v_mul_f32_e32 v29, 0xbf0a6770, v64
	v_fmamk_f32 v30, v17, 0xbf7d64f0, v63
	v_add_f32_e32 v18, v18, v13
	v_fmamk_f32 v13, v17, 0x3f0a6770, v34
	v_add_f32_e32 v61, v61, v67
	v_fmac_f32_e32 v63, 0x3f7d64f0, v17
	v_fmamk_f32 v67, v66, 0x3f575c64, v29
	v_add_f32_e32 v27, v30, v27
	v_mul_f32_e32 v30, 0xbe903f40, v64
	v_fma_f32 v29, 0x3f575c64, v66, -v29
	v_fmac_f32_e32 v34, 0xbf0a6770, v17
	v_add_f32_e32 v59, v13, v59
	v_mul_f32_e32 v13, 0xbf75a155, v16
	v_add_f32_e32 v24, v63, v24
	v_fmamk_f32 v63, v66, 0xbf75a155, v30
	v_add_f32_e32 v29, v29, v32
	v_add_f32_e32 v32, v34, v35
	v_mul_f32_e32 v34, 0x3f68dda4, v64
	v_fmamk_f32 v35, v17, 0x3e903f40, v13
	v_fmac_f32_e32 v13, 0xbe903f40, v17
	v_add_f32_e32 v58, v63, v58
	v_fma_f32 v30, 0xbf75a155, v66, -v30
	v_fmamk_f32 v63, v66, 0x3ed4b147, v34
	v_add_f32_e32 v35, v35, v60
	v_mul_f32_e32 v16, 0x3ed4b147, v16
	v_add_f32_e32 v60, v13, v62
	v_add_f32_e32 v62, v20, v21
	;; [unrolled: 1-line block ×5, first 2 shown]
	v_sub_f32_e32 v25, v20, v21
	v_fmamk_f32 v13, v17, 0xbf68dda4, v16
	v_add_f32_e32 v63, v31, v33
	v_fmac_f32_e32 v16, 0x3f68dda4, v17
	v_sub_f32_e32 v31, v31, v33
	v_mul_f32_e32 v17, 0xbf75a155, v62
	v_add_f32_e32 v65, v65, v68
	v_mul_f32_e32 v20, 0xbe903f40, v25
	v_add_f32_e32 v64, v16, v1
	v_fma_f32 v34, 0x3ed4b147, v66, -v34
	v_fmamk_f32 v1, v31, 0x3e903f40, v17
	v_add_f32_e32 v33, v13, v65
	v_fmamk_f32 v13, v63, 0xbf75a155, v20
	v_fmac_f32_e32 v17, 0xbe903f40, v31
	v_add_f32_e32 v34, v34, v0
	v_add_f32_e32 v1, v1, v19
	v_mul_f32_e32 v19, 0x3f575c64, v62
	v_mul_f32_e32 v21, 0x3f0a6770, v25
	v_add_f32_e32 v0, v13, v12
	v_fma_f32 v12, 0xbf75a155, v63, -v20
	v_add_f32_e32 v13, v17, v23
	v_mul_f32_e32 v23, 0xbf4178ce, v25
	v_fmamk_f32 v17, v31, 0xbf0a6770, v19
	v_fmac_f32_e32 v19, 0x3f0a6770, v31
	v_add_f32_e32 v28, v67, v28
	v_fmamk_f32 v16, v63, 0x3f575c64, v21
	v_add_f32_e32 v12, v12, v26
	v_fma_f32 v20, 0x3f575c64, v63, -v21
	v_fmamk_f32 v21, v63, 0xbf27a4f4, v23
	v_mul_f32_e32 v26, 0xbf27a4f4, v62
	v_add_f32_e32 v19, v19, v24
	v_mul_f32_e32 v24, 0x3f68dda4, v25
	v_add_f32_e32 v16, v16, v22
	v_add_f32_e32 v17, v17, v27
	;; [unrolled: 1-line block ×4, first 2 shown]
	v_fmamk_f32 v21, v31, 0x3f4178ce, v26
	v_fma_f32 v22, 0xbf27a4f4, v63, -v23
	v_fmac_f32_e32 v26, 0xbf4178ce, v31
	v_mul_f32_e32 v27, 0x3ed4b147, v62
	v_fmamk_f32 v28, v63, 0x3ed4b147, v24
	v_add_f32_e32 v21, v21, v59
	v_add_f32_e32 v22, v22, v29
	;; [unrolled: 1-line block ×3, first 2 shown]
	v_fmamk_f32 v26, v31, 0xbf68dda4, v27
	v_fma_f32 v29, 0x3ed4b147, v63, -v24
	v_add_f32_e32 v24, v28, v58
	v_mul_f32_e32 v28, 0xbf7d64f0, v25
	v_mul_f32_e32 v32, 0xbe11bafb, v62
	v_add_f32_e32 v25, v26, v35
	v_add_f32_e32 v26, v29, v30
	v_fmac_f32_e32 v27, 0x3f68dda4, v31
	v_fmamk_f32 v29, v63, 0xbe11bafb, v28
	v_fmamk_f32 v30, v31, 0x3f7d64f0, v32
	v_fma_f32 v35, 0xbe11bafb, v63, -v28
	v_fmac_f32_e32 v32, 0xbf7d64f0, v31
	v_add_f32_e32 v27, v27, v60
	v_add_f32_e32 v28, v29, v61
	;; [unrolled: 1-line block ×3, first 2 shown]
	v_add_nc_u32_e32 v33, 0x400, v92
	v_add_f32_e32 v30, v35, v34
	v_add_f32_e32 v31, v32, v64
	ds_write2_b64 v93, v[2:3], v[0:1] offset1:17
	ds_write2_b64 v93, v[16:17], v[20:21] offset0:34 offset1:51
	ds_write2_b64 v93, v[24:25], v[28:29] offset0:68 offset1:85
	;; [unrolled: 1-line block ×4, first 2 shown]
	ds_write_b64 v93, v[12:13] offset:1360
	v_add_nc_u32_e32 v16, 0x1400, v92
	s_waitcnt lgkmcnt(0)
	s_barrier
	buffer_gl0_inv
	ds_read2_b64 v[0:3], v92 offset1:85
	ds_read2_b64 v[28:31], v33 offset0:59 offset1:144
	ds_read2_b64 v[24:27], v57 offset0:118 offset1:203
	;; [unrolled: 1-line block ×4, first 2 shown]
	v_add_nc_u32_e32 v32, 0x2a8, v95
	s_and_saveexec_b32 s1, s0
	s_cbranch_execz .LBB0_19
; %bb.18:
	ds_read2_b64 v[12:15], v33 offset0:42 offset1:229
	ds_read2_b64 v[52:55], v56 offset0:32 offset1:219
	ds_read_b64 v[74:75], v92 offset:7344
.LBB0_19:
	s_or_b32 exec_lo, exec_lo, s1
	s_waitcnt lgkmcnt(3)
	v_mul_f32_e32 v33, v45, v29
	v_mul_f32_e32 v34, v45, v28
	s_waitcnt lgkmcnt(2)
	v_mul_f32_e32 v35, v47, v25
	v_mul_f32_e32 v45, v47, v24
	v_fmac_f32_e32 v33, v44, v28
	v_fma_f32 v28, v44, v29, -v34
	s_waitcnt lgkmcnt(1)
	v_mul_f32_e32 v29, v41, v21
	v_mul_f32_e32 v34, v41, v20
	s_waitcnt lgkmcnt(0)
	v_mul_f32_e32 v41, v43, v17
	v_fmac_f32_e32 v35, v46, v24
	v_fma_f32 v24, v46, v25, -v45
	v_fmac_f32_e32 v29, v40, v20
	v_mul_f32_e32 v20, v49, v30
	v_fmac_f32_e32 v41, v42, v16
	v_mul_f32_e32 v16, v43, v16
	v_fma_f32 v25, v40, v21, -v34
	v_mul_f32_e32 v34, v49, v31
	v_mul_f32_e32 v21, v51, v26
	v_fma_f32 v43, v48, v31, -v20
	v_fma_f32 v42, v42, v17, -v16
	v_add_f32_e32 v16, v35, v29
	v_mul_f32_e32 v31, v37, v23
	v_mul_f32_e32 v17, v37, v22
	v_add_f32_e32 v20, v0, v33
	v_mul_f32_e32 v40, v51, v27
	v_fmac_f32_e32 v34, v48, v30
	v_fma_f32 v44, v50, v27, -v21
	v_mul_f32_e32 v27, v39, v19
	v_fma_f32 v16, -0.5, v16, v0
	v_sub_f32_e32 v21, v28, v42
	v_fmac_f32_e32 v31, v36, v22
	v_fma_f32 v36, v36, v23, -v17
	v_add_f32_e32 v17, v20, v35
	v_add_f32_e32 v30, v33, v41
	v_fmac_f32_e32 v40, v50, v26
	v_fmac_f32_e32 v27, v38, v18
	v_fmamk_f32 v20, v21, 0xbf737871, v16
	v_sub_f32_e32 v23, v24, v25
	v_sub_f32_e32 v22, v33, v35
	v_sub_f32_e32 v26, v41, v29
	v_mul_f32_e32 v37, v39, v18
	v_add_f32_e32 v17, v17, v29
	v_fma_f32 v18, -0.5, v30, v0
	v_fmac_f32_e32 v16, 0x3f737871, v21
	v_fmac_f32_e32 v20, 0xbf167918, v23
	v_add_f32_e32 v26, v22, v26
	v_fma_f32 v37, v38, v19, -v37
	v_add_f32_e32 v22, v17, v41
	v_fmamk_f32 v0, v23, 0x3f737871, v18
	v_sub_f32_e32 v17, v35, v33
	v_sub_f32_e32 v19, v29, v41
	v_fmac_f32_e32 v16, 0x3f167918, v23
	v_add_f32_e32 v30, v1, v28
	v_add_f32_e32 v38, v24, v25
	v_fmac_f32_e32 v18, 0xbf737871, v23
	v_fmac_f32_e32 v20, 0x3e9e377a, v26
	;; [unrolled: 1-line block ×3, first 2 shown]
	v_add_f32_e32 v19, v17, v19
	v_add_f32_e32 v23, v30, v24
	v_fma_f32 v17, -0.5, v38, v1
	v_sub_f32_e32 v30, v33, v41
	v_fmac_f32_e32 v16, 0x3e9e377a, v26
	v_fmac_f32_e32 v18, 0x3f167918, v21
	v_add_f32_e32 v26, v28, v42
	v_fmac_f32_e32 v0, 0x3e9e377a, v19
	v_add_f32_e32 v23, v23, v25
	v_fmamk_f32 v21, v30, 0x3f737871, v17
	v_sub_f32_e32 v29, v35, v29
	v_sub_f32_e32 v33, v28, v24
	;; [unrolled: 1-line block ×3, first 2 shown]
	v_fmac_f32_e32 v18, 0x3e9e377a, v19
	v_fma_f32 v19, -0.5, v26, v1
	v_fmac_f32_e32 v17, 0xbf737871, v30
	v_sub_f32_e32 v24, v24, v28
	v_sub_f32_e32 v25, v25, v42
	v_add_f32_e32 v28, v40, v31
	v_fmac_f32_e32 v21, 0x3f167918, v29
	v_add_f32_e32 v26, v33, v35
	v_fmamk_f32 v1, v29, 0xbf737871, v19
	v_fmac_f32_e32 v17, 0xbf167918, v29
	v_add_f32_e32 v25, v24, v25
	v_fmac_f32_e32 v19, 0x3f737871, v29
	v_add_f32_e32 v29, v2, v34
	v_fma_f32 v24, -0.5, v28, v2
	v_sub_f32_e32 v33, v43, v37
	v_fmac_f32_e32 v21, 0x3e9e377a, v26
	v_fmac_f32_e32 v1, 0x3f167918, v30
	;; [unrolled: 1-line block ×4, first 2 shown]
	v_add_f32_e32 v28, v29, v40
	v_fmamk_f32 v26, v33, 0xbf737871, v24
	v_sub_f32_e32 v29, v44, v36
	v_sub_f32_e32 v30, v34, v40
	;; [unrolled: 1-line block ×3, first 2 shown]
	v_fmac_f32_e32 v24, 0x3f737871, v33
	v_add_f32_e32 v38, v34, v27
	v_fmac_f32_e32 v26, 0xbf167918, v29
	v_fmac_f32_e32 v1, 0x3e9e377a, v25
	v_add_f32_e32 v30, v30, v35
	v_fmac_f32_e32 v24, 0x3f167918, v29
	v_fma_f32 v2, -0.5, v38, v2
	v_fmac_f32_e32 v19, 0x3e9e377a, v25
	v_add_f32_e32 v25, v3, v43
	v_fmac_f32_e32 v26, 0x3e9e377a, v30
	v_fmac_f32_e32 v24, 0x3e9e377a, v30
	v_fmamk_f32 v30, v29, 0x3f737871, v2
	v_fmac_f32_e32 v2, 0xbf737871, v29
	v_add_f32_e32 v35, v44, v36
	v_sub_f32_e32 v38, v40, v34
	v_sub_f32_e32 v39, v31, v27
	v_fmac_f32_e32 v30, 0xbf167918, v33
	v_fmac_f32_e32 v2, 0x3f167918, v33
	v_add_f32_e32 v33, v43, v37
	v_add_f32_e32 v28, v28, v31
	;; [unrolled: 1-line block ×3, first 2 shown]
	v_fma_f32 v25, -0.5, v35, v3
	v_sub_f32_e32 v34, v34, v27
	v_add_f32_e32 v35, v38, v39
	v_sub_f32_e32 v38, v40, v31
	v_fmac_f32_e32 v3, -0.5, v33
	v_add_f32_e32 v28, v28, v27
	v_fmamk_f32 v27, v34, 0x3f737871, v25
	v_fmac_f32_e32 v30, 0x3e9e377a, v35
	v_fmac_f32_e32 v2, 0x3e9e377a, v35
	v_sub_f32_e32 v33, v43, v44
	v_sub_f32_e32 v35, v37, v36
	v_fmac_f32_e32 v25, 0xbf737871, v34
	v_fmamk_f32 v31, v38, 0xbf737871, v3
	v_fmac_f32_e32 v3, 0x3f737871, v38
	v_add_f32_e32 v29, v29, v36
	v_sub_f32_e32 v39, v44, v43
	v_sub_f32_e32 v36, v36, v37
	v_fmac_f32_e32 v27, 0x3f167918, v38
	v_add_f32_e32 v33, v33, v35
	v_fmac_f32_e32 v25, 0xbf167918, v38
	v_fmac_f32_e32 v31, 0x3f167918, v34
	v_fmac_f32_e32 v3, 0xbf167918, v34
	v_add_nc_u32_e32 v34, 0x400, v94
	v_add_f32_e32 v35, v39, v36
	v_fmac_f32_e32 v27, 0x3e9e377a, v33
	v_fmac_f32_e32 v25, 0x3e9e377a, v33
	v_add_nc_u32_e32 v33, 0x1000, v94
	ds_write2_b64 v34, v[20:21], v[0:1] offset0:59 offset1:246
	v_lshl_add_u32 v0, v89, 3, v87
	v_add_f32_e32 v23, v23, v42
	v_add_f32_e32 v29, v29, v37
	v_fmac_f32_e32 v31, 0x3e9e377a, v35
	v_add_nc_u32_e32 v1, 0x400, v32
	v_fmac_f32_e32 v3, 0x3e9e377a, v35
	v_add_nc_u32_e32 v20, 0x1000, v32
	ds_write2_b64 v33, v[18:19], v[16:17] offset0:49 offset1:236
	ds_write2_b64 v94, v[22:23], v[28:29] offset1:85
	ds_write2_b64 v1, v[26:27], v[30:31] offset0:59 offset1:246
	ds_write2_b64 v20, v[2:3], v[24:25] offset0:49 offset1:236
	s_and_saveexec_b32 s1, s0
	s_cbranch_execz .LBB0_21
; %bb.20:
	v_mul_f32_e32 v1, v9, v14
	v_mul_f32_e32 v2, v7, v74
	v_mul_f32_e32 v3, v11, v52
	v_mul_f32_e32 v11, v11, v53
	v_mul_f32_e32 v16, v5, v55
	v_fma_f32 v17, v8, v15, -v1
	v_fma_f32 v18, v6, v75, -v2
	v_mul_f32_e32 v1, v5, v54
	v_fma_f32 v3, v10, v53, -v3
	v_fmac_f32_e32 v11, v10, v52
	v_fmac_f32_e32 v16, v4, v54
	v_add_f32_e32 v2, v17, v18
	v_mul_f32_e32 v9, v9, v15
	v_mul_f32_e32 v15, v7, v75
	v_fma_f32 v5, v4, v55, -v1
	v_sub_f32_e32 v1, v11, v16
	v_fma_f32 v2, -0.5, v2, v13
	v_fmac_f32_e32 v9, v8, v14
	v_fmac_f32_e32 v15, v6, v74
	v_sub_f32_e32 v6, v3, v17
	v_sub_f32_e32 v7, v5, v18
	v_add_f32_e32 v8, v3, v5
	v_fmamk_f32 v4, v1, 0x3f737871, v2
	v_sub_f32_e32 v10, v9, v15
	v_fmac_f32_e32 v2, 0xbf737871, v1
	v_add_f32_e32 v7, v6, v7
	v_fma_f32 v6, -0.5, v8, v13
	v_sub_f32_e32 v14, v17, v3
	v_fmac_f32_e32 v4, 0xbf167918, v10
	v_sub_f32_e32 v19, v18, v5
	v_fmac_f32_e32 v2, 0x3f167918, v10
	v_fmamk_f32 v8, v10, 0xbf737871, v6
	v_fmac_f32_e32 v6, 0x3f737871, v10
	v_add_f32_e32 v10, v13, v17
	v_add_f32_e32 v13, v14, v19
	v_fmac_f32_e32 v4, 0x3e9e377a, v7
	v_fmac_f32_e32 v8, 0xbf167918, v1
	;; [unrolled: 1-line block ×3, first 2 shown]
	v_add_f32_e32 v1, v10, v3
	v_fmac_f32_e32 v2, 0x3e9e377a, v7
	v_add_f32_e32 v7, v9, v15
	v_fmac_f32_e32 v8, 0x3e9e377a, v13
	v_fmac_f32_e32 v6, 0x3e9e377a, v13
	v_add_f32_e32 v10, v1, v5
	v_sub_f32_e32 v13, v11, v9
	v_sub_f32_e32 v14, v16, v15
	;; [unrolled: 1-line block ×3, first 2 shown]
	v_add_f32_e32 v5, v11, v16
	v_fma_f32 v1, -0.5, v7, v12
	v_add_f32_e32 v10, v10, v18
	v_add_f32_e32 v13, v13, v14
	v_sub_f32_e32 v14, v17, v18
	v_fma_f32 v5, -0.5, v5, v12
	v_add_f32_e32 v12, v12, v9
	v_sub_f32_e32 v9, v9, v11
	v_sub_f32_e32 v17, v15, v16
	v_fmamk_f32 v3, v19, 0xbf737871, v1
	v_fmamk_f32 v7, v14, 0x3f737871, v5
	v_fmac_f32_e32 v5, 0xbf737871, v14
	v_add_f32_e32 v11, v12, v11
	v_fmac_f32_e32 v1, 0x3f737871, v19
	v_add_f32_e32 v12, v9, v17
	v_fmac_f32_e32 v3, 0x3f167918, v14
	v_fmac_f32_e32 v5, 0xbf167918, v19
	v_add_f32_e32 v9, v11, v16
	v_fmac_f32_e32 v1, 0xbf167918, v14
	v_fmac_f32_e32 v7, 0x3f167918, v19
	v_add_nc_u32_e32 v11, 0x400, v0
	v_fmac_f32_e32 v5, 0x3e9e377a, v12
	v_add_f32_e32 v9, v9, v15
	v_fmac_f32_e32 v3, 0x3e9e377a, v13
	v_fmac_f32_e32 v1, 0x3e9e377a, v13
	v_add_nc_u32_e32 v13, 0x1000, v0
	v_fmac_f32_e32 v7, 0x3e9e377a, v12
	ds_write2_b64 v11, v[9:10], v[5:6] offset0:42 offset1:229
	ds_write2_b64 v13, v[1:2], v[3:4] offset0:32 offset1:219
	ds_write_b64 v0, v[7:8] offset:7344
.LBB0_21:
	s_or_b32 exec_lo, exec_lo, s1
	s_waitcnt lgkmcnt(0)
	s_barrier
	buffer_gl0_inv
	s_and_b32 exec_lo, exec_lo, vcc_lo
	s_cbranch_execz .LBB0_23
; %bb.22:
	global_load_dwordx2 v[1:2], v87, s[12:13]
	ds_read_b64 v[3:4], v94
	s_mov_b32 s0, 0xfa401186
	s_mov_b32 s1, 0x3f5185e2
	v_mad_u64_u32 v[7:8], null, s4, v88, 0
	s_mul_i32 s2, s5, 0x1b8
	s_mul_i32 s3, s4, 0x1b8
	v_add_nc_u32_e32 v13, 0x800, v0
	s_waitcnt vmcnt(0) lgkmcnt(0)
	v_mul_f32_e32 v5, v4, v2
	v_mul_f32_e32 v2, v3, v2
	v_fmac_f32_e32 v5, v3, v1
	v_fma_f32 v3, v1, v4, -v2
	v_cvt_f64_f32_e32 v[1:2], v5
	v_cvt_f64_f32_e32 v[3:4], v3
	v_mad_u64_u32 v[5:6], null, s6, v84, 0
	v_mad_u64_u32 v[9:10], null, s7, v84, v[6:7]
	;; [unrolled: 1-line block ×3, first 2 shown]
	v_mov_b32_e32 v6, v9
	s_mul_hi_u32 s5, s4, 0x1b8
	v_mul_f64 v[1:2], v[1:2], s[0:1]
	v_mul_f64 v[3:4], v[3:4], s[0:1]
	s_add_i32 s2, s5, s2
	v_add_co_u32 v11, s4, s12, v87
	v_mov_b32_e32 v8, v10
	v_add_co_ci_u32_e64 v12, null, s13, 0, s4
	v_cvt_f32_f64_e32 v1, v[1:2]
	v_cvt_f32_f64_e32 v2, v[3:4]
	v_lshlrev_b64 v[3:4], 3, v[5:6]
	v_lshlrev_b64 v[5:6], 3, v[7:8]
	v_add_co_u32 v3, vcc_lo, s14, v3
	v_add_co_ci_u32_e32 v4, vcc_lo, s15, v4, vcc_lo
	v_add_co_u32 v5, vcc_lo, v3, v5
	v_add_co_ci_u32_e32 v6, vcc_lo, v4, v6, vcc_lo
	global_store_dwordx2 v[5:6], v[1:2], off
	global_load_dwordx2 v[7:8], v87, s[12:13] offset:440
	ds_read2_b64 v[1:4], v0 offset0:55 offset1:110
	v_add_co_u32 v5, vcc_lo, v5, s3
	v_add_co_ci_u32_e32 v6, vcc_lo, s2, v6, vcc_lo
	s_waitcnt vmcnt(0) lgkmcnt(0)
	v_mul_f32_e32 v9, v2, v8
	v_mul_f32_e32 v8, v1, v8
	v_fmac_f32_e32 v9, v1, v7
	v_fma_f32 v7, v7, v2, -v8
	v_cvt_f64_f32_e32 v[1:2], v9
	v_cvt_f64_f32_e32 v[7:8], v7
	v_mul_f64 v[1:2], v[1:2], s[0:1]
	v_mul_f64 v[7:8], v[7:8], s[0:1]
	v_cvt_f32_f64_e32 v1, v[1:2]
	v_cvt_f32_f64_e32 v2, v[7:8]
	global_store_dwordx2 v[5:6], v[1:2], off
	global_load_dwordx2 v[1:2], v87, s[12:13] offset:880
	v_add_co_u32 v5, vcc_lo, v5, s3
	v_add_co_ci_u32_e32 v6, vcc_lo, s2, v6, vcc_lo
	s_waitcnt vmcnt(0)
	v_mul_f32_e32 v7, v4, v2
	v_mul_f32_e32 v2, v3, v2
	v_fmac_f32_e32 v7, v3, v1
	v_fma_f32 v3, v1, v4, -v2
	v_cvt_f64_f32_e32 v[1:2], v7
	v_cvt_f64_f32_e32 v[3:4], v3
	v_mul_f64 v[1:2], v[1:2], s[0:1]
	v_mul_f64 v[3:4], v[3:4], s[0:1]
	v_cvt_f32_f64_e32 v1, v[1:2]
	v_cvt_f32_f64_e32 v2, v[3:4]
	global_store_dwordx2 v[5:6], v[1:2], off
	global_load_dwordx2 v[7:8], v87, s[12:13] offset:1320
	ds_read2_b64 v[1:4], v0 offset0:165 offset1:220
	v_add_co_u32 v5, vcc_lo, v5, s3
	v_add_co_ci_u32_e32 v6, vcc_lo, s2, v6, vcc_lo
	s_waitcnt vmcnt(0) lgkmcnt(0)
	v_mul_f32_e32 v9, v2, v8
	v_mul_f32_e32 v8, v1, v8
	v_fmac_f32_e32 v9, v1, v7
	v_fma_f32 v7, v7, v2, -v8
	v_cvt_f64_f32_e32 v[1:2], v9
	v_cvt_f64_f32_e32 v[7:8], v7
	v_mul_f64 v[1:2], v[1:2], s[0:1]
	v_mul_f64 v[7:8], v[7:8], s[0:1]
	v_cvt_f32_f64_e32 v1, v[1:2]
	v_cvt_f32_f64_e32 v2, v[7:8]
	global_store_dwordx2 v[5:6], v[1:2], off
	global_load_dwordx2 v[1:2], v87, s[12:13] offset:1760
	v_add_co_u32 v5, vcc_lo, v5, s3
	v_add_co_ci_u32_e32 v6, vcc_lo, s2, v6, vcc_lo
	s_waitcnt vmcnt(0)
	v_mul_f32_e32 v7, v4, v2
	v_mul_f32_e32 v2, v3, v2
	v_fmac_f32_e32 v7, v3, v1
	v_fma_f32 v3, v1, v4, -v2
	v_cvt_f64_f32_e32 v[1:2], v7
	v_cvt_f64_f32_e32 v[3:4], v3
	v_add_co_u32 v7, vcc_lo, 0x800, v11
	v_add_co_ci_u32_e32 v8, vcc_lo, 0, v12, vcc_lo
	v_mul_f64 v[1:2], v[1:2], s[0:1]
	v_mul_f64 v[3:4], v[3:4], s[0:1]
	v_cvt_f32_f64_e32 v1, v[1:2]
	v_cvt_f32_f64_e32 v2, v[3:4]
	global_store_dwordx2 v[5:6], v[1:2], off
	global_load_dwordx2 v[9:10], v[7:8], off offset:152
	ds_read2_b64 v[1:4], v13 offset0:19 offset1:74
	v_add_co_u32 v5, vcc_lo, v5, s3
	v_add_co_ci_u32_e32 v6, vcc_lo, s2, v6, vcc_lo
	s_waitcnt vmcnt(0) lgkmcnt(0)
	v_mul_f32_e32 v14, v2, v10
	v_mul_f32_e32 v10, v1, v10
	v_fmac_f32_e32 v14, v1, v9
	v_fma_f32 v9, v9, v2, -v10
	v_cvt_f64_f32_e32 v[1:2], v14
	v_cvt_f64_f32_e32 v[9:10], v9
	v_mul_f64 v[1:2], v[1:2], s[0:1]
	v_mul_f64 v[9:10], v[9:10], s[0:1]
	v_cvt_f32_f64_e32 v1, v[1:2]
	v_cvt_f32_f64_e32 v2, v[9:10]
	global_store_dwordx2 v[5:6], v[1:2], off
	global_load_dwordx2 v[1:2], v[7:8], off offset:592
	v_add_co_u32 v5, vcc_lo, v5, s3
	v_add_co_ci_u32_e32 v6, vcc_lo, s2, v6, vcc_lo
	s_waitcnt vmcnt(0)
	v_mul_f32_e32 v9, v4, v2
	v_mul_f32_e32 v2, v3, v2
	v_fmac_f32_e32 v9, v3, v1
	v_fma_f32 v3, v1, v4, -v2
	v_cvt_f64_f32_e32 v[1:2], v9
	v_cvt_f64_f32_e32 v[3:4], v3
	v_mul_f64 v[1:2], v[1:2], s[0:1]
	v_mul_f64 v[3:4], v[3:4], s[0:1]
	v_cvt_f32_f64_e32 v1, v[1:2]
	v_cvt_f32_f64_e32 v2, v[3:4]
	global_store_dwordx2 v[5:6], v[1:2], off
	global_load_dwordx2 v[9:10], v[7:8], off offset:1032
	ds_read2_b64 v[1:4], v13 offset0:129 offset1:184
	v_add_co_u32 v5, vcc_lo, v5, s3
	v_add_co_ci_u32_e32 v6, vcc_lo, s2, v6, vcc_lo
	s_waitcnt vmcnt(0) lgkmcnt(0)
	v_mul_f32_e32 v13, v2, v10
	v_mul_f32_e32 v10, v1, v10
	v_fmac_f32_e32 v13, v1, v9
	v_fma_f32 v9, v9, v2, -v10
	v_cvt_f64_f32_e32 v[1:2], v13
	v_cvt_f64_f32_e32 v[9:10], v9
	v_mul_f64 v[1:2], v[1:2], s[0:1]
	v_mul_f64 v[9:10], v[9:10], s[0:1]
	v_cvt_f32_f64_e32 v1, v[1:2]
	v_cvt_f32_f64_e32 v2, v[9:10]
	global_store_dwordx2 v[5:6], v[1:2], off
	global_load_dwordx2 v[1:2], v[7:8], off offset:1472
	v_add_co_u32 v5, vcc_lo, v5, s3
	v_add_co_ci_u32_e32 v6, vcc_lo, s2, v6, vcc_lo
	s_waitcnt vmcnt(0)
	v_mul_f32_e32 v9, v4, v2
	v_mul_f32_e32 v2, v3, v2
	v_fmac_f32_e32 v9, v3, v1
	v_fma_f32 v3, v1, v4, -v2
	v_cvt_f64_f32_e32 v[1:2], v9
	v_cvt_f64_f32_e32 v[3:4], v3
	v_mul_f64 v[1:2], v[1:2], s[0:1]
	v_mul_f64 v[3:4], v[3:4], s[0:1]
	v_cvt_f32_f64_e32 v1, v[1:2]
	v_cvt_f32_f64_e32 v2, v[3:4]
	global_store_dwordx2 v[5:6], v[1:2], off
	global_load_dwordx2 v[7:8], v[7:8], off offset:1912
	v_add_nc_u32_e32 v1, 0xc00, v0
	v_add_co_u32 v5, vcc_lo, v5, s3
	v_add_co_ci_u32_e32 v6, vcc_lo, s2, v6, vcc_lo
	ds_read2_b64 v[1:4], v1 offset0:111 offset1:166
	s_waitcnt vmcnt(0) lgkmcnt(0)
	v_mul_f32_e32 v9, v2, v8
	v_mul_f32_e32 v8, v1, v8
	v_fmac_f32_e32 v9, v1, v7
	v_fma_f32 v7, v7, v2, -v8
	v_cvt_f64_f32_e32 v[1:2], v9
	v_cvt_f64_f32_e32 v[7:8], v7
	v_mul_f64 v[1:2], v[1:2], s[0:1]
	v_mul_f64 v[7:8], v[7:8], s[0:1]
	v_cvt_f32_f64_e32 v1, v[1:2]
	v_cvt_f32_f64_e32 v2, v[7:8]
	v_add_co_u32 v7, vcc_lo, 0x1000, v11
	v_add_co_ci_u32_e32 v8, vcc_lo, 0, v12, vcc_lo
	global_store_dwordx2 v[5:6], v[1:2], off
	global_load_dwordx2 v[1:2], v[7:8], off offset:304
	v_add_co_u32 v5, vcc_lo, v5, s3
	v_add_co_ci_u32_e32 v6, vcc_lo, s2, v6, vcc_lo
	s_waitcnt vmcnt(0)
	v_mul_f32_e32 v9, v4, v2
	v_mul_f32_e32 v2, v3, v2
	v_fmac_f32_e32 v9, v3, v1
	v_fma_f32 v3, v1, v4, -v2
	v_cvt_f64_f32_e32 v[1:2], v9
	v_cvt_f64_f32_e32 v[3:4], v3
	v_mul_f64 v[1:2], v[1:2], s[0:1]
	v_mul_f64 v[3:4], v[3:4], s[0:1]
	v_cvt_f32_f64_e32 v1, v[1:2]
	v_cvt_f32_f64_e32 v2, v[3:4]
	global_store_dwordx2 v[5:6], v[1:2], off
	global_load_dwordx2 v[9:10], v[7:8], off offset:744
	v_add_nc_u32_e32 v1, 0x1000, v0
	v_add_co_u32 v5, vcc_lo, v5, s3
	v_add_co_ci_u32_e32 v6, vcc_lo, s2, v6, vcc_lo
	ds_read2_b64 v[1:4], v1 offset0:93 offset1:148
	s_waitcnt vmcnt(0) lgkmcnt(0)
	v_mul_f32_e32 v13, v2, v10
	v_mul_f32_e32 v10, v1, v10
	v_fmac_f32_e32 v13, v1, v9
	v_fma_f32 v9, v9, v2, -v10
	v_cvt_f64_f32_e32 v[1:2], v13
	v_cvt_f64_f32_e32 v[9:10], v9
	v_mul_f64 v[1:2], v[1:2], s[0:1]
	v_mul_f64 v[9:10], v[9:10], s[0:1]
	v_cvt_f32_f64_e32 v1, v[1:2]
	v_cvt_f32_f64_e32 v2, v[9:10]
	global_store_dwordx2 v[5:6], v[1:2], off
	global_load_dwordx2 v[1:2], v[7:8], off offset:1184
	v_add_co_u32 v5, vcc_lo, v5, s3
	v_add_co_ci_u32_e32 v6, vcc_lo, s2, v6, vcc_lo
	s_waitcnt vmcnt(0)
	v_mul_f32_e32 v9, v4, v2
	v_mul_f32_e32 v2, v3, v2
	v_fmac_f32_e32 v9, v3, v1
	v_fma_f32 v3, v1, v4, -v2
	v_cvt_f64_f32_e32 v[1:2], v9
	v_cvt_f64_f32_e32 v[3:4], v3
	v_mul_f64 v[1:2], v[1:2], s[0:1]
	v_mul_f64 v[3:4], v[3:4], s[0:1]
	v_cvt_f32_f64_e32 v1, v[1:2]
	v_cvt_f32_f64_e32 v2, v[3:4]
	global_store_dwordx2 v[5:6], v[1:2], off
	global_load_dwordx2 v[7:8], v[7:8], off offset:1624
	v_add_nc_u32_e32 v1, 0x1400, v0
	v_add_co_u32 v5, vcc_lo, v5, s3
	v_add_co_ci_u32_e32 v6, vcc_lo, s2, v6, vcc_lo
	ds_read2_b64 v[1:4], v1 offset0:75 offset1:130
	v_add_nc_u32_e32 v0, 0x1800, v0
	s_waitcnt vmcnt(0) lgkmcnt(0)
	v_mul_f32_e32 v9, v2, v8
	v_mul_f32_e32 v8, v1, v8
	v_fmac_f32_e32 v9, v1, v7
	v_fma_f32 v7, v7, v2, -v8
	v_cvt_f64_f32_e32 v[1:2], v9
	v_cvt_f64_f32_e32 v[7:8], v7
	v_mul_f64 v[1:2], v[1:2], s[0:1]
	v_mul_f64 v[7:8], v[7:8], s[0:1]
	v_cvt_f32_f64_e32 v1, v[1:2]
	v_cvt_f32_f64_e32 v2, v[7:8]
	v_add_co_u32 v7, vcc_lo, 0x1800, v11
	v_add_co_ci_u32_e32 v8, vcc_lo, 0, v12, vcc_lo
	global_store_dwordx2 v[5:6], v[1:2], off
	global_load_dwordx2 v[1:2], v[7:8], off offset:16
	s_waitcnt vmcnt(0)
	v_mul_f32_e32 v9, v4, v2
	v_mul_f32_e32 v2, v3, v2
	v_fmac_f32_e32 v9, v3, v1
	v_fma_f32 v3, v1, v4, -v2
	v_cvt_f64_f32_e32 v[1:2], v9
	v_cvt_f64_f32_e32 v[3:4], v3
	v_mul_f64 v[1:2], v[1:2], s[0:1]
	v_mul_f64 v[3:4], v[3:4], s[0:1]
	v_cvt_f32_f64_e32 v1, v[1:2]
	v_cvt_f32_f64_e32 v2, v[3:4]
	v_add_co_u32 v4, vcc_lo, v5, s3
	v_add_co_ci_u32_e32 v5, vcc_lo, s2, v6, vcc_lo
	global_store_dwordx2 v[4:5], v[1:2], off
	global_load_dwordx2 v[9:10], v[7:8], off offset:456
	ds_read2_b64 v[0:3], v0 offset0:57 offset1:112
	v_add_co_u32 v4, vcc_lo, v4, s3
	v_add_co_ci_u32_e32 v5, vcc_lo, s2, v5, vcc_lo
	s_waitcnt vmcnt(0) lgkmcnt(0)
	v_mul_f32_e32 v6, v1, v10
	v_mul_f32_e32 v10, v0, v10
	v_fmac_f32_e32 v6, v0, v9
	v_fma_f32 v9, v9, v1, -v10
	v_cvt_f64_f32_e32 v[0:1], v6
	v_cvt_f64_f32_e32 v[9:10], v9
	v_mul_f64 v[0:1], v[0:1], s[0:1]
	v_mul_f64 v[9:10], v[9:10], s[0:1]
	v_cvt_f32_f64_e32 v0, v[0:1]
	v_cvt_f32_f64_e32 v1, v[9:10]
	global_store_dwordx2 v[4:5], v[0:1], off
	global_load_dwordx2 v[0:1], v[7:8], off offset:896
	s_waitcnt vmcnt(0)
	v_mul_f32_e32 v6, v3, v1
	v_mul_f32_e32 v1, v2, v1
	v_fmac_f32_e32 v6, v2, v0
	v_fma_f32 v2, v0, v3, -v1
	v_cvt_f64_f32_e32 v[0:1], v6
	v_cvt_f64_f32_e32 v[2:3], v2
	v_mul_f64 v[0:1], v[0:1], s[0:1]
	v_mul_f64 v[2:3], v[2:3], s[0:1]
	v_cvt_f32_f64_e32 v0, v[0:1]
	v_cvt_f32_f64_e32 v1, v[2:3]
	v_add_co_u32 v2, vcc_lo, v4, s3
	v_add_co_ci_u32_e32 v3, vcc_lo, s2, v5, vcc_lo
	global_store_dwordx2 v[2:3], v[0:1], off
.LBB0_23:
	s_endpgm
	.section	.rodata,"a",@progbits
	.p2align	6, 0x0
	.amdhsa_kernel bluestein_single_back_len935_dim1_sp_op_CI_CI
		.amdhsa_group_segment_fixed_size 22440
		.amdhsa_private_segment_fixed_size 0
		.amdhsa_kernarg_size 104
		.amdhsa_user_sgpr_count 6
		.amdhsa_user_sgpr_private_segment_buffer 1
		.amdhsa_user_sgpr_dispatch_ptr 0
		.amdhsa_user_sgpr_queue_ptr 0
		.amdhsa_user_sgpr_kernarg_segment_ptr 1
		.amdhsa_user_sgpr_dispatch_id 0
		.amdhsa_user_sgpr_flat_scratch_init 0
		.amdhsa_user_sgpr_private_segment_size 0
		.amdhsa_wavefront_size32 1
		.amdhsa_uses_dynamic_stack 0
		.amdhsa_system_sgpr_private_segment_wavefront_offset 0
		.amdhsa_system_sgpr_workgroup_id_x 1
		.amdhsa_system_sgpr_workgroup_id_y 0
		.amdhsa_system_sgpr_workgroup_id_z 0
		.amdhsa_system_sgpr_workgroup_info 0
		.amdhsa_system_vgpr_workitem_id 0
		.amdhsa_next_free_vgpr 212
		.amdhsa_next_free_sgpr 16
		.amdhsa_reserve_vcc 1
		.amdhsa_reserve_flat_scratch 0
		.amdhsa_float_round_mode_32 0
		.amdhsa_float_round_mode_16_64 0
		.amdhsa_float_denorm_mode_32 3
		.amdhsa_float_denorm_mode_16_64 3
		.amdhsa_dx10_clamp 1
		.amdhsa_ieee_mode 1
		.amdhsa_fp16_overflow 0
		.amdhsa_workgroup_processor_mode 1
		.amdhsa_memory_ordered 1
		.amdhsa_forward_progress 0
		.amdhsa_shared_vgpr_count 0
		.amdhsa_exception_fp_ieee_invalid_op 0
		.amdhsa_exception_fp_denorm_src 0
		.amdhsa_exception_fp_ieee_div_zero 0
		.amdhsa_exception_fp_ieee_overflow 0
		.amdhsa_exception_fp_ieee_underflow 0
		.amdhsa_exception_fp_ieee_inexact 0
		.amdhsa_exception_int_div_zero 0
	.end_amdhsa_kernel
	.text
.Lfunc_end0:
	.size	bluestein_single_back_len935_dim1_sp_op_CI_CI, .Lfunc_end0-bluestein_single_back_len935_dim1_sp_op_CI_CI
                                        ; -- End function
	.section	.AMDGPU.csdata,"",@progbits
; Kernel info:
; codeLenInByte = 22420
; NumSgprs: 18
; NumVgprs: 212
; ScratchSize: 0
; MemoryBound: 0
; FloatMode: 240
; IeeeMode: 1
; LDSByteSize: 22440 bytes/workgroup (compile time only)
; SGPRBlocks: 2
; VGPRBlocks: 26
; NumSGPRsForWavesPerEU: 18
; NumVGPRsForWavesPerEU: 212
; Occupancy: 4
; WaveLimiterHint : 1
; COMPUTE_PGM_RSRC2:SCRATCH_EN: 0
; COMPUTE_PGM_RSRC2:USER_SGPR: 6
; COMPUTE_PGM_RSRC2:TRAP_HANDLER: 0
; COMPUTE_PGM_RSRC2:TGID_X_EN: 1
; COMPUTE_PGM_RSRC2:TGID_Y_EN: 0
; COMPUTE_PGM_RSRC2:TGID_Z_EN: 0
; COMPUTE_PGM_RSRC2:TIDIG_COMP_CNT: 0
	.text
	.p2alignl 6, 3214868480
	.fill 48, 4, 3214868480
	.type	__hip_cuid_63f53ee7d031fd34,@object ; @__hip_cuid_63f53ee7d031fd34
	.section	.bss,"aw",@nobits
	.globl	__hip_cuid_63f53ee7d031fd34
__hip_cuid_63f53ee7d031fd34:
	.byte	0                               ; 0x0
	.size	__hip_cuid_63f53ee7d031fd34, 1

	.ident	"AMD clang version 19.0.0git (https://github.com/RadeonOpenCompute/llvm-project roc-6.4.0 25133 c7fe45cf4b819c5991fe208aaa96edf142730f1d)"
	.section	".note.GNU-stack","",@progbits
	.addrsig
	.addrsig_sym __hip_cuid_63f53ee7d031fd34
	.amdgpu_metadata
---
amdhsa.kernels:
  - .args:
      - .actual_access:  read_only
        .address_space:  global
        .offset:         0
        .size:           8
        .value_kind:     global_buffer
      - .actual_access:  read_only
        .address_space:  global
        .offset:         8
        .size:           8
        .value_kind:     global_buffer
      - .actual_access:  read_only
        .address_space:  global
        .offset:         16
        .size:           8
        .value_kind:     global_buffer
      - .actual_access:  read_only
        .address_space:  global
        .offset:         24
        .size:           8
        .value_kind:     global_buffer
      - .actual_access:  read_only
        .address_space:  global
        .offset:         32
        .size:           8
        .value_kind:     global_buffer
      - .offset:         40
        .size:           8
        .value_kind:     by_value
      - .address_space:  global
        .offset:         48
        .size:           8
        .value_kind:     global_buffer
      - .address_space:  global
        .offset:         56
        .size:           8
        .value_kind:     global_buffer
      - .address_space:  global
        .offset:         64
        .size:           8
        .value_kind:     global_buffer
      - .address_space:  global
        .offset:         72
        .size:           8
        .value_kind:     global_buffer
      - .offset:         80
        .size:           4
        .value_kind:     by_value
      - .address_space:  global
        .offset:         88
        .size:           8
        .value_kind:     global_buffer
      - .address_space:  global
        .offset:         96
        .size:           8
        .value_kind:     global_buffer
    .group_segment_fixed_size: 22440
    .kernarg_segment_align: 8
    .kernarg_segment_size: 104
    .language:       OpenCL C
    .language_version:
      - 2
      - 0
    .max_flat_workgroup_size: 255
    .name:           bluestein_single_back_len935_dim1_sp_op_CI_CI
    .private_segment_fixed_size: 0
    .sgpr_count:     18
    .sgpr_spill_count: 0
    .symbol:         bluestein_single_back_len935_dim1_sp_op_CI_CI.kd
    .uniform_work_group_size: 1
    .uses_dynamic_stack: false
    .vgpr_count:     212
    .vgpr_spill_count: 0
    .wavefront_size: 32
    .workgroup_processor_mode: 1
amdhsa.target:   amdgcn-amd-amdhsa--gfx1030
amdhsa.version:
  - 1
  - 2
...

	.end_amdgpu_metadata
